;; amdgpu-corpus repo=ROCm/rocFFT kind=compiled arch=gfx1201 opt=O3
	.text
	.amdgcn_target "amdgcn-amd-amdhsa--gfx1201"
	.amdhsa_code_object_version 6
	.protected	fft_rtc_back_len2250_factors_10_3_5_3_5_wgs_90_tpt_90_halfLds_dp_ip_CI_sbrr_dirReg ; -- Begin function fft_rtc_back_len2250_factors_10_3_5_3_5_wgs_90_tpt_90_halfLds_dp_ip_CI_sbrr_dirReg
	.globl	fft_rtc_back_len2250_factors_10_3_5_3_5_wgs_90_tpt_90_halfLds_dp_ip_CI_sbrr_dirReg
	.p2align	8
	.type	fft_rtc_back_len2250_factors_10_3_5_3_5_wgs_90_tpt_90_halfLds_dp_ip_CI_sbrr_dirReg,@function
fft_rtc_back_len2250_factors_10_3_5_3_5_wgs_90_tpt_90_halfLds_dp_ip_CI_sbrr_dirReg: ; @fft_rtc_back_len2250_factors_10_3_5_3_5_wgs_90_tpt_90_halfLds_dp_ip_CI_sbrr_dirReg
; %bb.0:
	s_clause 0x2
	s_load_b64 s[12:13], s[0:1], 0x18
	s_load_b128 s[4:7], s[0:1], 0x0
	s_load_b64 s[10:11], s[0:1], 0x50
	v_mul_u32_u24_e32 v1, 0x2d9, v0
	v_mov_b32_e32 v3, 0
	s_delay_alu instid0(VALU_DEP_2) | instskip(NEXT) | instid1(VALU_DEP_1)
	v_lshrrev_b32_e32 v1, 16, v1
	v_add_nc_u32_e32 v5, ttmp9, v1
	v_mov_b32_e32 v1, 0
	v_mov_b32_e32 v2, 0
	;; [unrolled: 1-line block ×3, first 2 shown]
	s_wait_kmcnt 0x0
	s_load_b64 s[8:9], s[12:13], 0x0
	v_cmp_lt_u64_e64 s2, s[6:7], 2
	s_delay_alu instid0(VALU_DEP_1)
	s_and_b32 vcc_lo, exec_lo, s2
	s_cbranch_vccnz .LBB0_8
; %bb.1:
	s_load_b64 s[2:3], s[0:1], 0x10
	v_mov_b32_e32 v1, 0
	v_mov_b32_e32 v2, 0
	s_add_nc_u64 s[14:15], s[12:13], 8
	s_mov_b64 s[16:17], 1
	s_wait_kmcnt 0x0
	s_add_nc_u64 s[18:19], s[2:3], 8
	s_mov_b32 s3, 0
.LBB0_2:                                ; =>This Inner Loop Header: Depth=1
	s_load_b64 s[20:21], s[18:19], 0x0
                                        ; implicit-def: $vgpr7_vgpr8
	s_mov_b32 s2, exec_lo
	s_wait_kmcnt 0x0
	v_or_b32_e32 v4, s21, v6
	s_delay_alu instid0(VALU_DEP_1)
	v_cmpx_ne_u64_e32 0, v[3:4]
	s_wait_alu 0xfffe
	s_xor_b32 s22, exec_lo, s2
	s_cbranch_execz .LBB0_4
; %bb.3:                                ;   in Loop: Header=BB0_2 Depth=1
	s_cvt_f32_u32 s2, s20
	s_cvt_f32_u32 s23, s21
	s_sub_nc_u64 s[26:27], 0, s[20:21]
	s_wait_alu 0xfffe
	s_delay_alu instid0(SALU_CYCLE_1) | instskip(SKIP_1) | instid1(SALU_CYCLE_2)
	s_fmamk_f32 s2, s23, 0x4f800000, s2
	s_wait_alu 0xfffe
	v_s_rcp_f32 s2, s2
	s_delay_alu instid0(TRANS32_DEP_1) | instskip(SKIP_1) | instid1(SALU_CYCLE_2)
	s_mul_f32 s2, s2, 0x5f7ffffc
	s_wait_alu 0xfffe
	s_mul_f32 s23, s2, 0x2f800000
	s_wait_alu 0xfffe
	s_delay_alu instid0(SALU_CYCLE_2) | instskip(SKIP_1) | instid1(SALU_CYCLE_2)
	s_trunc_f32 s23, s23
	s_wait_alu 0xfffe
	s_fmamk_f32 s2, s23, 0xcf800000, s2
	s_cvt_u32_f32 s25, s23
	s_wait_alu 0xfffe
	s_delay_alu instid0(SALU_CYCLE_1) | instskip(SKIP_1) | instid1(SALU_CYCLE_2)
	s_cvt_u32_f32 s24, s2
	s_wait_alu 0xfffe
	s_mul_u64 s[28:29], s[26:27], s[24:25]
	s_wait_alu 0xfffe
	s_mul_hi_u32 s31, s24, s29
	s_mul_i32 s30, s24, s29
	s_mul_hi_u32 s2, s24, s28
	s_mul_i32 s33, s25, s28
	s_wait_alu 0xfffe
	s_add_nc_u64 s[30:31], s[2:3], s[30:31]
	s_mul_hi_u32 s23, s25, s28
	s_mul_hi_u32 s34, s25, s29
	s_add_co_u32 s2, s30, s33
	s_wait_alu 0xfffe
	s_add_co_ci_u32 s2, s31, s23
	s_mul_i32 s28, s25, s29
	s_add_co_ci_u32 s29, s34, 0
	s_wait_alu 0xfffe
	s_add_nc_u64 s[28:29], s[2:3], s[28:29]
	s_wait_alu 0xfffe
	v_add_co_u32 v4, s2, s24, s28
	s_delay_alu instid0(VALU_DEP_1) | instskip(SKIP_1) | instid1(VALU_DEP_1)
	s_cmp_lg_u32 s2, 0
	s_add_co_ci_u32 s25, s25, s29
	v_readfirstlane_b32 s24, v4
	s_wait_alu 0xfffe
	s_delay_alu instid0(VALU_DEP_1)
	s_mul_u64 s[26:27], s[26:27], s[24:25]
	s_wait_alu 0xfffe
	s_mul_hi_u32 s29, s24, s27
	s_mul_i32 s28, s24, s27
	s_mul_hi_u32 s2, s24, s26
	s_mul_i32 s30, s25, s26
	s_wait_alu 0xfffe
	s_add_nc_u64 s[28:29], s[2:3], s[28:29]
	s_mul_hi_u32 s23, s25, s26
	s_mul_hi_u32 s24, s25, s27
	s_wait_alu 0xfffe
	s_add_co_u32 s2, s28, s30
	s_add_co_ci_u32 s2, s29, s23
	s_mul_i32 s26, s25, s27
	s_add_co_ci_u32 s27, s24, 0
	s_wait_alu 0xfffe
	s_add_nc_u64 s[26:27], s[2:3], s[26:27]
	s_wait_alu 0xfffe
	v_add_co_u32 v4, s2, v4, s26
	s_delay_alu instid0(VALU_DEP_1) | instskip(SKIP_1) | instid1(VALU_DEP_1)
	s_cmp_lg_u32 s2, 0
	s_add_co_ci_u32 s2, s25, s27
	v_mul_hi_u32 v13, v5, v4
	s_wait_alu 0xfffe
	v_mad_co_u64_u32 v[7:8], null, v5, s2, 0
	v_mad_co_u64_u32 v[9:10], null, v6, v4, 0
	;; [unrolled: 1-line block ×3, first 2 shown]
	s_delay_alu instid0(VALU_DEP_3) | instskip(SKIP_1) | instid1(VALU_DEP_4)
	v_add_co_u32 v4, vcc_lo, v13, v7
	s_wait_alu 0xfffd
	v_add_co_ci_u32_e32 v7, vcc_lo, 0, v8, vcc_lo
	s_delay_alu instid0(VALU_DEP_2) | instskip(SKIP_1) | instid1(VALU_DEP_2)
	v_add_co_u32 v4, vcc_lo, v4, v9
	s_wait_alu 0xfffd
	v_add_co_ci_u32_e32 v4, vcc_lo, v7, v10, vcc_lo
	s_wait_alu 0xfffd
	v_add_co_ci_u32_e32 v7, vcc_lo, 0, v12, vcc_lo
	s_delay_alu instid0(VALU_DEP_2) | instskip(SKIP_1) | instid1(VALU_DEP_2)
	v_add_co_u32 v4, vcc_lo, v4, v11
	s_wait_alu 0xfffd
	v_add_co_ci_u32_e32 v9, vcc_lo, 0, v7, vcc_lo
	s_delay_alu instid0(VALU_DEP_2) | instskip(SKIP_1) | instid1(VALU_DEP_3)
	v_mul_lo_u32 v10, s21, v4
	v_mad_co_u64_u32 v[7:8], null, s20, v4, 0
	v_mul_lo_u32 v11, s20, v9
	s_delay_alu instid0(VALU_DEP_2) | instskip(NEXT) | instid1(VALU_DEP_2)
	v_sub_co_u32 v7, vcc_lo, v5, v7
	v_add3_u32 v8, v8, v11, v10
	s_delay_alu instid0(VALU_DEP_1) | instskip(SKIP_1) | instid1(VALU_DEP_1)
	v_sub_nc_u32_e32 v10, v6, v8
	s_wait_alu 0xfffd
	v_subrev_co_ci_u32_e64 v10, s2, s21, v10, vcc_lo
	v_add_co_u32 v11, s2, v4, 2
	s_wait_alu 0xf1ff
	v_add_co_ci_u32_e64 v12, s2, 0, v9, s2
	v_sub_co_u32 v13, s2, v7, s20
	v_sub_co_ci_u32_e32 v8, vcc_lo, v6, v8, vcc_lo
	s_wait_alu 0xf1ff
	v_subrev_co_ci_u32_e64 v10, s2, 0, v10, s2
	s_delay_alu instid0(VALU_DEP_3) | instskip(NEXT) | instid1(VALU_DEP_3)
	v_cmp_le_u32_e32 vcc_lo, s20, v13
	v_cmp_eq_u32_e64 s2, s21, v8
	s_wait_alu 0xfffd
	v_cndmask_b32_e64 v13, 0, -1, vcc_lo
	v_cmp_le_u32_e32 vcc_lo, s21, v10
	s_wait_alu 0xfffd
	v_cndmask_b32_e64 v14, 0, -1, vcc_lo
	v_cmp_le_u32_e32 vcc_lo, s20, v7
	;; [unrolled: 3-line block ×3, first 2 shown]
	s_wait_alu 0xfffd
	v_cndmask_b32_e64 v15, 0, -1, vcc_lo
	v_cmp_eq_u32_e32 vcc_lo, s21, v10
	s_wait_alu 0xf1ff
	s_delay_alu instid0(VALU_DEP_2)
	v_cndmask_b32_e64 v7, v15, v7, s2
	s_wait_alu 0xfffd
	v_cndmask_b32_e32 v10, v14, v13, vcc_lo
	v_add_co_u32 v13, vcc_lo, v4, 1
	s_wait_alu 0xfffd
	v_add_co_ci_u32_e32 v14, vcc_lo, 0, v9, vcc_lo
	s_delay_alu instid0(VALU_DEP_3) | instskip(SKIP_2) | instid1(VALU_DEP_3)
	v_cmp_ne_u32_e32 vcc_lo, 0, v10
	s_wait_alu 0xfffd
	v_cndmask_b32_e32 v10, v13, v11, vcc_lo
	v_cndmask_b32_e32 v8, v14, v12, vcc_lo
	v_cmp_ne_u32_e32 vcc_lo, 0, v7
	s_wait_alu 0xfffd
	s_delay_alu instid0(VALU_DEP_2)
	v_dual_cndmask_b32 v7, v4, v10 :: v_dual_cndmask_b32 v8, v9, v8
.LBB0_4:                                ;   in Loop: Header=BB0_2 Depth=1
	s_wait_alu 0xfffe
	s_and_not1_saveexec_b32 s2, s22
	s_cbranch_execz .LBB0_6
; %bb.5:                                ;   in Loop: Header=BB0_2 Depth=1
	v_cvt_f32_u32_e32 v4, s20
	s_sub_co_i32 s22, 0, s20
	s_delay_alu instid0(VALU_DEP_1) | instskip(NEXT) | instid1(TRANS32_DEP_1)
	v_rcp_iflag_f32_e32 v4, v4
	v_mul_f32_e32 v4, 0x4f7ffffe, v4
	s_delay_alu instid0(VALU_DEP_1) | instskip(SKIP_1) | instid1(VALU_DEP_1)
	v_cvt_u32_f32_e32 v4, v4
	s_wait_alu 0xfffe
	v_mul_lo_u32 v7, s22, v4
	s_delay_alu instid0(VALU_DEP_1) | instskip(NEXT) | instid1(VALU_DEP_1)
	v_mul_hi_u32 v7, v4, v7
	v_add_nc_u32_e32 v4, v4, v7
	s_delay_alu instid0(VALU_DEP_1) | instskip(NEXT) | instid1(VALU_DEP_1)
	v_mul_hi_u32 v4, v5, v4
	v_mul_lo_u32 v7, v4, s20
	v_add_nc_u32_e32 v8, 1, v4
	s_delay_alu instid0(VALU_DEP_2) | instskip(NEXT) | instid1(VALU_DEP_1)
	v_sub_nc_u32_e32 v7, v5, v7
	v_subrev_nc_u32_e32 v9, s20, v7
	v_cmp_le_u32_e32 vcc_lo, s20, v7
	s_wait_alu 0xfffd
	s_delay_alu instid0(VALU_DEP_2) | instskip(NEXT) | instid1(VALU_DEP_1)
	v_dual_cndmask_b32 v7, v7, v9 :: v_dual_cndmask_b32 v4, v4, v8
	v_cmp_le_u32_e32 vcc_lo, s20, v7
	s_delay_alu instid0(VALU_DEP_2) | instskip(SKIP_1) | instid1(VALU_DEP_1)
	v_add_nc_u32_e32 v8, 1, v4
	s_wait_alu 0xfffd
	v_dual_cndmask_b32 v7, v4, v8 :: v_dual_mov_b32 v8, v3
.LBB0_6:                                ;   in Loop: Header=BB0_2 Depth=1
	s_wait_alu 0xfffe
	s_or_b32 exec_lo, exec_lo, s2
	s_load_b64 s[22:23], s[14:15], 0x0
	s_delay_alu instid0(VALU_DEP_1)
	v_mul_lo_u32 v4, v8, s20
	v_mul_lo_u32 v11, v7, s21
	v_mad_co_u64_u32 v[9:10], null, v7, s20, 0
	s_add_nc_u64 s[16:17], s[16:17], 1
	s_add_nc_u64 s[14:15], s[14:15], 8
	s_wait_alu 0xfffe
	v_cmp_ge_u64_e64 s2, s[16:17], s[6:7]
	s_add_nc_u64 s[18:19], s[18:19], 8
	s_delay_alu instid0(VALU_DEP_2) | instskip(NEXT) | instid1(VALU_DEP_3)
	v_add3_u32 v4, v10, v11, v4
	v_sub_co_u32 v5, vcc_lo, v5, v9
	s_wait_alu 0xfffd
	s_delay_alu instid0(VALU_DEP_2) | instskip(SKIP_3) | instid1(VALU_DEP_2)
	v_sub_co_ci_u32_e32 v4, vcc_lo, v6, v4, vcc_lo
	s_and_b32 vcc_lo, exec_lo, s2
	s_wait_kmcnt 0x0
	v_mul_lo_u32 v6, s23, v5
	v_mul_lo_u32 v4, s22, v4
	v_mad_co_u64_u32 v[1:2], null, s22, v5, v[1:2]
	s_delay_alu instid0(VALU_DEP_1)
	v_add3_u32 v2, v6, v2, v4
	s_wait_alu 0xfffe
	s_cbranch_vccnz .LBB0_9
; %bb.7:                                ;   in Loop: Header=BB0_2 Depth=1
	v_dual_mov_b32 v5, v7 :: v_dual_mov_b32 v6, v8
	s_branch .LBB0_2
.LBB0_8:
	v_dual_mov_b32 v8, v6 :: v_dual_mov_b32 v7, v5
.LBB0_9:
	s_lshl_b64 s[2:3], s[6:7], 3
	v_mul_hi_u32 v3, 0x2d82d83, v0
	s_wait_alu 0xfffe
	s_add_nc_u64 s[2:3], s[12:13], s[2:3]
                                        ; implicit-def: $vgpr255
	s_load_b64 s[2:3], s[2:3], 0x0
	s_load_b64 s[0:1], s[0:1], 0x20
	s_delay_alu instid0(VALU_DEP_1) | instskip(NEXT) | instid1(VALU_DEP_1)
	v_mul_u32_u24_e32 v3, 0x5a, v3
	v_sub_nc_u32_e32 v195, v0, v3
	s_wait_kmcnt 0x0
	v_mul_lo_u32 v4, s2, v8
	v_mul_lo_u32 v5, s3, v7
	v_mad_co_u64_u32 v[1:2], null, s2, v7, v[1:2]
	v_cmp_gt_u64_e32 vcc_lo, s[0:1], v[7:8]
	v_cmp_le_u64_e64 s0, s[0:1], v[7:8]
	s_delay_alu instid0(VALU_DEP_3) | instskip(NEXT) | instid1(VALU_DEP_2)
	v_add3_u32 v2, v5, v2, v4
	s_and_saveexec_b32 s1, s0
	s_wait_alu 0xfffe
	s_xor_b32 s0, exec_lo, s1
; %bb.10:
	v_add_nc_u32_e32 v255, 0x5a, v195
; %bb.11:
	s_wait_alu 0xfffe
	s_or_saveexec_b32 s1, s0
	v_lshlrev_b64_e32 v[0:1], 4, v[1:2]
                                        ; implicit-def: $vgpr110_vgpr111
                                        ; implicit-def: $vgpr98_vgpr99
                                        ; implicit-def: $vgpr114_vgpr115
                                        ; implicit-def: $vgpr94_vgpr95
                                        ; implicit-def: $vgpr118_vgpr119
                                        ; implicit-def: $vgpr90_vgpr91
                                        ; implicit-def: $vgpr106_vgpr107
                                        ; implicit-def: $vgpr86_vgpr87
                                        ; implicit-def: $vgpr102_vgpr103
                                        ; implicit-def: $vgpr58_vgpr59
                                        ; implicit-def: $vgpr50_vgpr51
                                        ; implicit-def: $vgpr54_vgpr55
                                        ; implicit-def: $vgpr70_vgpr71
                                        ; implicit-def: $vgpr74_vgpr75
                                        ; implicit-def: $vgpr82_vgpr83
                                        ; implicit-def: $vgpr78_vgpr79
                                        ; implicit-def: $vgpr66_vgpr67
                                        ; implicit-def: $vgpr42_vgpr43
                                        ; implicit-def: $vgpr62_vgpr63
                                        ; implicit-def: $vgpr46_vgpr47
                                        ; implicit-def: $vgpr26_vgpr27
                                        ; implicit-def: $vgpr30_vgpr31
                                        ; implicit-def: $vgpr14_vgpr15
                                        ; implicit-def: $vgpr18_vgpr19
                                        ; implicit-def: $vgpr34_vgpr35
                                        ; implicit-def: $vgpr38_vgpr39
                                        ; implicit-def: $vgpr22_vgpr23
                                        ; implicit-def: $vgpr10_vgpr11
                                        ; implicit-def: $vgpr6_vgpr7
                                        ; implicit-def: $vgpr2_vgpr3
	scratch_store_b64 off, v[0:1], off offset:8 ; 8-byte Folded Spill
	s_wait_alu 0xfffe
	s_xor_b32 exec_lo, exec_lo, s1
	s_cbranch_execz .LBB0_15
; %bb.12:
	v_add_nc_u32_e32 v6, 0xe1, v195
	v_mad_co_u64_u32 v[0:1], null, s8, v195, 0
	v_add_nc_u32_e32 v21, 0x465, v195
	v_add_nc_u32_e32 v30, 0x7e9, v195
	s_delay_alu instid0(VALU_DEP_4) | instskip(SKIP_1) | instid1(VALU_DEP_4)
	v_mad_co_u64_u32 v[2:3], null, s8, v6, 0
	v_add_nc_u32_e32 v55, 0x3de, v195
	v_mad_co_u64_u32 v[14:15], null, s8, v21, 0
	s_delay_alu instid0(VALU_DEP_4) | instskip(SKIP_3) | instid1(VALU_DEP_3)
	v_mad_co_u64_u32 v[28:29], null, s8, v30, 0
	v_add_nc_u32_e32 v59, 0x4bf, v195
	v_mad_co_u64_u32 v[4:5], null, s9, v195, v[1:2]
	v_dual_mov_b32 v1, v3 :: v_dual_add_nc_u32 v12, 0x1c2, v195
	v_mad_co_u64_u32 v[53:54], null, s8, v59, 0
	v_add_nc_u32_e32 v70, 0x5a0, v195
	s_delay_alu instid0(VALU_DEP_3)
	v_mad_co_u64_u32 v[5:6], null, s9, v6, v[1:2]
	v_mov_b32_e32 v1, v4
	scratch_load_b64 v[3:4], off, off offset:8 ; 8-byte Folded Reload
	v_mad_co_u64_u32 v[8:9], null, s8, v12, 0
	v_add_nc_u32_e32 v7, 0x2a3, v195
	v_lshlrev_b64_e32 v[0:1], 4, v[0:1]
	v_add_nc_u32_e32 v72, 0x843, v195
	s_mov_b32 s2, exec_lo
                                        ; implicit-def: $vgpr100_vgpr101
                                        ; implicit-def: $vgpr104_vgpr105
                                        ; implicit-def: $vgpr88_vgpr89
                                        ; implicit-def: $vgpr116_vgpr117
                                        ; implicit-def: $vgpr92_vgpr93
                                        ; implicit-def: $vgpr112_vgpr113
                                        ; implicit-def: $vgpr96_vgpr97
                                        ; implicit-def: $vgpr108_vgpr109
	v_add_nc_u32_e32 v51, 0x2fd, v195
	v_add_nc_u32_e32 v73, 0x762, v195
	s_wait_loadcnt 0x0
	v_add_co_u32 v90, s0, s10, v3
	s_wait_alu 0xf1ff
	v_add_co_ci_u32_e64 v91, s0, s11, v4, s0
	v_mov_b32_e32 v4, v9
	v_mad_co_u64_u32 v[10:11], null, s8, v7, 0
	v_mov_b32_e32 v3, v5
	v_add_co_u32 v0, s0, v90, v0
	s_delay_alu instid0(VALU_DEP_4)
	v_mad_co_u64_u32 v[4:5], null, s9, v12, v[4:5]
	v_add_nc_u32_e32 v16, 0x384, v195
	v_mov_b32_e32 v6, v11
	v_lshlrev_b64_e32 v[2:3], 4, v[2:3]
	s_wait_alu 0xf1ff
	v_add_co_ci_u32_e64 v1, s0, v91, v1, s0
	s_delay_alu instid0(VALU_DEP_3) | instskip(SKIP_3) | instid1(VALU_DEP_3)
	v_mad_co_u64_u32 v[11:12], null, s9, v7, v[6:7]
	v_mov_b32_e32 v9, v4
	v_mad_co_u64_u32 v[12:13], null, s8, v16, 0
	v_add_co_u32 v5, s0, v90, v2
	v_lshlrev_b64_e32 v[8:9], 4, v[8:9]
	v_lshlrev_b64_e32 v[10:11], 4, v[10:11]
	s_wait_alu 0xf1ff
	v_add_co_ci_u32_e64 v6, s0, v91, v3, s0
	v_mad_co_u64_u32 v[16:17], null, s9, v16, v[13:14]
	s_delay_alu instid0(VALU_DEP_4)
	v_add_co_u32 v8, s0, v90, v8
	s_wait_alu 0xf1ff
	v_add_co_ci_u32_e64 v9, s0, v91, v9, s0
	v_add_co_u32 v19, s0, v90, v10
	s_wait_alu 0xf1ff
	v_add_co_ci_u32_e64 v20, s0, v91, v11, s0
	s_clause 0x1
	global_load_b128 v[0:3], v[0:1], off
	global_load_b128 v[4:7], v[5:6], off
	v_dual_mov_b32 v13, v16 :: v_dual_add_nc_u32 v26, 0x627, v195
	v_mad_co_u64_u32 v[15:16], null, s9, v21, v[15:16]
	s_clause 0x1
	global_load_b128 v[8:11], v[8:9], off
	global_load_b128 v[20:23], v[19:20], off
	v_mad_co_u64_u32 v[24:25], null, s8, v26, 0
	v_add_nc_u32_e32 v27, 0x546, v195
	v_lshlrev_b64_e32 v[12:13], 4, v[12:13]
	v_lshlrev_b64_e32 v[14:15], 4, v[14:15]
	s_delay_alu instid0(VALU_DEP_3) | instskip(NEXT) | instid1(VALU_DEP_3)
	v_mad_co_u64_u32 v[17:18], null, s8, v27, 0
	v_add_co_u32 v12, s0, v90, v12
	s_wait_alu 0xf1ff
	s_delay_alu instid0(VALU_DEP_4) | instskip(NEXT) | instid1(VALU_DEP_4)
	v_add_co_ci_u32_e64 v13, s0, v91, v13, s0
	v_add_co_u32 v14, s0, v90, v14
	s_delay_alu instid0(VALU_DEP_4) | instskip(SKIP_2) | instid1(VALU_DEP_2)
	v_mov_b32_e32 v16, v18
	s_wait_alu 0xf1ff
	v_add_co_ci_u32_e64 v15, s0, v91, v15, s0
	v_mad_co_u64_u32 v[18:19], null, s9, v27, v[16:17]
	v_dual_mov_b32 v16, v25 :: v_dual_add_nc_u32 v19, 0x708, v195
	s_delay_alu instid0(VALU_DEP_1) | instskip(NEXT) | instid1(VALU_DEP_2)
	v_mad_co_u64_u32 v[25:26], null, s9, v26, v[16:17]
	v_mad_co_u64_u32 v[26:27], null, s8, v19, 0
	s_delay_alu instid0(VALU_DEP_4) | instskip(NEXT) | instid1(VALU_DEP_3)
	v_lshlrev_b64_e32 v[16:17], 4, v[17:18]
	v_lshlrev_b64_e32 v[24:25], 4, v[24:25]
	s_delay_alu instid0(VALU_DEP_3) | instskip(NEXT) | instid1(VALU_DEP_3)
	v_mov_b32_e32 v18, v27
	v_add_co_u32 v16, s0, v90, v16
	s_wait_alu 0xf1ff
	s_delay_alu instid0(VALU_DEP_4) | instskip(NEXT) | instid1(VALU_DEP_3)
	v_add_co_ci_u32_e64 v17, s0, v91, v17, s0
	v_mad_co_u64_u32 v[18:19], null, s9, v19, v[18:19]
	v_mov_b32_e32 v19, v29
	v_add_co_u32 v24, s0, v90, v24
	s_wait_alu 0xf1ff
	v_add_co_ci_u32_e64 v25, s0, v91, v25, s0
	s_delay_alu instid0(VALU_DEP_4)
	v_mov_b32_e32 v27, v18
	s_wait_loadcnt 0x0
	v_mad_co_u64_u32 v[29:30], null, s9, v30, v[19:20]
	v_add_nc_u32_e32 v30, 0x5a, v195
	s_clause 0x3
	global_load_b128 v[36:39], v[12:13], off
	global_load_b128 v[32:35], v[14:15], off
	;; [unrolled: 1-line block ×4, first 2 shown]
	v_lshlrev_b64_e32 v[24:25], 4, v[26:27]
	v_mad_co_u64_u32 v[40:41], null, s8, v30, 0
	v_lshlrev_b64_e32 v[27:28], 4, v[28:29]
	v_add_nc_u32_e32 v31, 0x13b, v195
	s_delay_alu instid0(VALU_DEP_4)
	v_add_co_u32 v24, s0, v90, v24
	s_wait_alu 0xf1ff
	v_add_co_ci_u32_e64 v25, s0, v91, v25, s0
	v_mov_b32_e32 v26, v41
	v_mad_co_u64_u32 v[42:43], null, s8, v31, 0
	v_add_co_u32 v46, s0, v90, v27
	s_delay_alu instid0(VALU_DEP_3) | instskip(SKIP_3) | instid1(VALU_DEP_3)
	v_mad_co_u64_u32 v[29:30], null, s9, v30, v[26:27]
	v_add_nc_u32_e32 v52, 0x21c, v195
	s_wait_alu 0xf1ff
	v_add_co_ci_u32_e64 v47, s0, v91, v28, s0
	v_dual_mov_b32 v26, v43 :: v_dual_mov_b32 v41, v29
	s_delay_alu instid0(VALU_DEP_3) | instskip(NEXT) | instid1(VALU_DEP_2)
	v_mad_co_u64_u32 v[44:45], null, s8, v52, 0
	v_mad_co_u64_u32 v[48:49], null, s9, v31, v[26:27]
	v_mad_co_u64_u32 v[49:50], null, s8, v51, 0
	s_clause 0x1
	global_load_b128 v[28:31], v[24:25], off
	global_load_b128 v[24:27], v[46:47], off
	v_lshlrev_b64_e32 v[40:41], 4, v[40:41]
	v_mov_b32_e32 v43, v45
	s_delay_alu instid0(VALU_DEP_1) | instskip(SKIP_1) | instid1(VALU_DEP_4)
	v_mad_co_u64_u32 v[45:46], null, s9, v52, v[43:44]
	v_mov_b32_e32 v46, v50
	v_add_co_u32 v40, s0, v90, v40
	s_wait_alu 0xf1ff
	v_add_co_ci_u32_e64 v41, s0, v91, v41, s0
	s_delay_alu instid0(VALU_DEP_3) | instskip(SKIP_3) | instid1(VALU_DEP_4)
	v_mad_co_u64_u32 v[46:47], null, s9, v51, v[46:47]
	v_mad_co_u64_u32 v[51:52], null, s8, v55, 0
	v_mov_b32_e32 v43, v48
	v_lshlrev_b64_e32 v[44:45], 4, v[44:45]
	v_mov_b32_e32 v50, v46
	s_delay_alu instid0(VALU_DEP_3) | instskip(SKIP_1) | instid1(VALU_DEP_3)
	v_lshlrev_b64_e32 v[42:43], 4, v[42:43]
	v_mov_b32_e32 v46, v52
	v_lshlrev_b64_e32 v[47:48], 4, v[49:50]
	s_delay_alu instid0(VALU_DEP_3) | instskip(SKIP_1) | instid1(VALU_DEP_4)
	v_add_co_u32 v42, s0, v90, v42
	s_wait_alu 0xf1ff
	v_add_co_ci_u32_e64 v43, s0, v91, v43, s0
	s_delay_alu instid0(VALU_DEP_3)
	v_mad_co_u64_u32 v[49:50], null, s9, v55, v[46:47]
	v_add_co_u32 v55, s0, v90, v44
	v_mov_b32_e32 v44, v54
	s_wait_alu 0xf1ff
	v_add_co_ci_u32_e64 v56, s0, v91, v45, s0
	v_add_co_u32 v57, s0, v90, v47
	s_wait_alu 0xf1ff
	v_add_co_ci_u32_e64 v58, s0, v91, v48, s0
	v_mov_b32_e32 v52, v49
	v_mad_co_u64_u32 v[48:49], null, s9, v59, v[44:45]
	v_add_nc_u32_e32 v59, 0x681, v195
	v_mad_co_u64_u32 v[49:50], null, s8, v70, 0
	s_clause 0x3
	global_load_b128 v[44:47], v[40:41], off
	global_load_b128 v[60:63], v[42:43], off
	;; [unrolled: 1-line block ×4, first 2 shown]
	v_mad_co_u64_u32 v[68:69], null, s8, v59, 0
	v_mov_b32_e32 v54, v48
	v_mad_co_u64_u32 v[55:56], null, s8, v73, 0
	v_mov_b32_e32 v48, v50
	v_lshlrev_b64_e32 v[51:52], 4, v[51:52]
	s_delay_alu instid0(VALU_DEP_4) | instskip(SKIP_1) | instid1(VALU_DEP_4)
	v_lshlrev_b64_e32 v[53:54], 4, v[53:54]
	v_mov_b32_e32 v50, v69
	v_mad_co_u64_u32 v[57:58], null, s9, v70, v[48:49]
	v_mad_co_u64_u32 v[70:71], null, s8, v72, 0
	s_delay_alu instid0(VALU_DEP_3)
	v_mad_co_u64_u32 v[58:59], null, s9, v59, v[50:51]
	v_mov_b32_e32 v48, v56
	v_add_co_u32 v51, s0, v90, v51
	v_mov_b32_e32 v50, v57
	s_wait_alu 0xf1ff
	v_add_co_ci_u32_e64 v52, s0, v91, v52, s0
	v_mad_co_u64_u32 v[56:57], null, s9, v73, v[48:49]
	s_delay_alu instid0(VALU_DEP_3) | instskip(SKIP_4) | instid1(VALU_DEP_3)
	v_lshlrev_b64_e32 v[49:50], 4, v[49:50]
	v_dual_mov_b32 v48, v71 :: v_dual_mov_b32 v69, v58
	v_add_co_u32 v53, s0, v90, v53
	s_wait_alu 0xf1ff
	v_add_co_ci_u32_e64 v54, s0, v91, v54, s0
	v_mad_co_u64_u32 v[57:58], null, s9, v72, v[48:49]
	v_lshlrev_b64_e32 v[58:59], 4, v[68:69]
	v_add_co_u32 v48, s0, v90, v49
	v_lshlrev_b64_e32 v[55:56], 4, v[55:56]
	s_wait_alu 0xf1ff
	v_add_co_ci_u32_e64 v49, s0, v91, v50, s0
	v_mov_b32_e32 v71, v57
	v_add_co_u32 v57, s0, v90, v58
	s_wait_alu 0xf1ff
	v_add_co_ci_u32_e64 v58, s0, v91, v59, s0
	s_delay_alu instid0(VALU_DEP_3) | instskip(SKIP_3) | instid1(VALU_DEP_3)
	v_lshlrev_b64_e32 v[68:69], 4, v[70:71]
	v_add_co_u32 v55, s0, v90, v55
	s_wait_alu 0xf1ff
	v_add_co_ci_u32_e64 v56, s0, v91, v56, s0
	v_add_co_u32 v84, s0, v90, v68
	s_wait_alu 0xf1ff
	v_add_co_ci_u32_e64 v85, s0, v91, v69, s0
	s_clause 0x5
	global_load_b128 v[76:79], v[51:52], off
	global_load_b128 v[80:83], v[53:54], off
	;; [unrolled: 1-line block ×6, first 2 shown]
                                        ; implicit-def: $vgpr56_vgpr57
                                        ; implicit-def: $vgpr84_vgpr85
	v_cmpx_gt_u32_e32 45, v195
	s_cbranch_execz .LBB0_14
; %bb.13:
	v_add_nc_u32_e32 v94, 0x276, v195
	v_add_nc_u32_e32 v89, 0x195, v195
	;; [unrolled: 1-line block ×5, first 2 shown]
	v_mad_co_u64_u32 v[84:85], null, s8, v94, 0
	v_add_nc_u32_e32 v86, 0xb4, v195
	v_mad_co_u64_u32 v[58:59], null, s8, v89, 0
	v_mad_co_u64_u32 v[108:109], null, s8, v111, 0
	s_delay_alu instid0(VALU_DEP_3)
	v_mad_co_u64_u32 v[56:57], null, s8, v86, 0
	v_add_nc_u32_e32 v96, 0x438, v195
	v_add_nc_u32_e32 v110, 0x5fa, v195
	s_wait_loadcnt 0x8
	v_mad_co_u64_u32 v[92:93], null, s9, v89, v[59:60]
	v_add_nc_u32_e32 v112, 0x89d, v195
	v_mad_co_u64_u32 v[86:87], null, s9, v86, v[57:58]
	v_mov_b32_e32 v57, v85
	v_mad_co_u64_u32 v[87:88], null, s8, v95, 0
	v_mov_b32_e32 v59, v92
	s_delay_alu instid0(VALU_DEP_3) | instskip(SKIP_1) | instid1(VALU_DEP_3)
	v_mad_co_u64_u32 v[93:94], null, s9, v94, v[57:58]
	v_mov_b32_e32 v57, v86
	v_lshlrev_b64_e32 v[58:59], 4, v[58:59]
	v_mov_b32_e32 v85, v88
	s_delay_alu instid0(VALU_DEP_3) | instskip(NEXT) | instid1(VALU_DEP_2)
	v_lshlrev_b64_e32 v[56:57], 4, v[56:57]
	v_mad_co_u64_u32 v[88:89], null, s9, v95, v[85:86]
	v_mad_co_u64_u32 v[94:95], null, s8, v96, 0
	s_delay_alu instid0(VALU_DEP_3) | instskip(SKIP_1) | instid1(VALU_DEP_4)
	v_add_co_u32 v56, s0, v90, v56
	s_wait_alu 0xf1ff
	v_add_co_ci_u32_e64 v57, s0, v91, v57, s0
	v_add_co_u32 v92, s0, v90, v58
	v_mov_b32_e32 v85, v93
	s_wait_alu 0xf1ff
	v_add_co_ci_u32_e64 v93, s0, v91, v59, s0
	s_clause 0x1
	global_load_b128 v[56:59], v[56:57], off
	global_load_b128 v[100:103], v[92:93], off
	v_mad_co_u64_u32 v[92:93], null, s8, v98, 0
	v_lshlrev_b64_e32 v[84:85], 4, v[84:85]
	v_lshlrev_b64_e32 v[87:88], 4, v[87:88]
	v_mov_b32_e32 v86, v95
	s_delay_alu instid0(VALU_DEP_3) | instskip(NEXT) | instid1(VALU_DEP_2)
	v_add_co_u32 v84, s0, v90, v84
	v_mad_co_u64_u32 v[95:96], null, s9, v96, v[86:87]
	v_mov_b32_e32 v86, v93
	s_wait_alu 0xf1ff
	v_add_co_ci_u32_e64 v85, s0, v91, v85, s0
	v_add_co_u32 v96, s0, v90, v87
	s_wait_alu 0xf1ff
	v_add_co_ci_u32_e64 v97, s0, v91, v88, s0
	v_mad_co_u64_u32 v[88:89], null, s8, v110, 0
	v_mad_co_u64_u32 v[98:99], null, s9, v98, v[86:87]
	s_clause 0x1
	global_load_b128 v[84:87], v[84:85], off
	global_load_b128 v[104:107], v[96:97], off
	v_lshlrev_b64_e32 v[94:95], 4, v[94:95]
	v_mad_co_u64_u32 v[96:97], null, s9, v110, v[89:90]
	v_mov_b32_e32 v89, v109
	v_mov_b32_e32 v93, v98
	s_delay_alu instid0(VALU_DEP_4)
	v_add_co_u32 v94, s0, v90, v94
	s_wait_alu 0xf1ff
	v_add_co_ci_u32_e64 v95, s0, v91, v95, s0
	v_mad_co_u64_u32 v[109:110], null, s9, v111, v[89:90]
	v_mad_co_u64_u32 v[110:111], null, s8, v112, 0
	v_add_nc_u32_e32 v99, 0x7bc, v195
	v_mov_b32_e32 v89, v96
	v_lshlrev_b64_e32 v[92:93], 4, v[92:93]
	v_lshlrev_b64_e32 v[108:109], 4, v[108:109]
	v_mov_b32_e32 v96, v111
	v_mad_co_u64_u32 v[97:98], null, s8, v99, 0
	v_lshlrev_b64_e32 v[88:89], 4, v[88:89]
	v_add_co_u32 v92, s0, v90, v92
	s_wait_alu 0xf1ff
	v_add_co_ci_u32_e64 v93, s0, v91, v93, s0
	s_delay_alu instid0(VALU_DEP_4) | instskip(SKIP_4) | instid1(VALU_DEP_4)
	v_mad_co_u64_u32 v[98:99], null, s9, v99, v[98:99]
	v_mad_co_u64_u32 v[111:112], null, s9, v112, v[96:97]
	v_add_co_u32 v112, s0, v90, v88
	s_wait_alu 0xf1ff
	v_add_co_ci_u32_e64 v113, s0, v91, v89, s0
	v_lshlrev_b64_e32 v[88:89], 4, v[97:98]
	v_add_co_u32 v96, s0, v90, v108
	v_lshlrev_b64_e32 v[98:99], 4, v[110:111]
	s_wait_alu 0xf1ff
	v_add_co_ci_u32_e64 v97, s0, v91, v109, s0
	s_delay_alu instid0(VALU_DEP_4)
	v_add_co_u32 v108, s0, v90, v88
	s_wait_alu 0xf1ff
	v_add_co_ci_u32_e64 v109, s0, v91, v89, s0
	v_add_co_u32 v110, s0, v90, v98
	s_wait_alu 0xf1ff
	v_add_co_ci_u32_e64 v111, s0, v91, v99, s0
	s_clause 0x5
	global_load_b128 v[88:91], v[94:95], off
	global_load_b128 v[116:119], v[92:93], off
	;; [unrolled: 1-line block ×6, first 2 shown]
.LBB0_14:
	s_wait_alu 0xfffe
	s_or_b32 exec_lo, exec_lo, s2
	v_add_nc_u32_e32 v255, 0x5a, v195
.LBB0_15:
	s_or_b32 exec_lo, exec_lo, s1
	s_wait_loadcnt 0xc
	v_add_f64_e32 v[136:137], v[14:15], v[34:35]
	s_wait_loadcnt 0xa
	v_add_f64_e32 v[138:139], v[26:27], v[22:23]
	;; [unrolled: 2-line block ×4, first 2 shown]
	v_add_f64_e32 v[160:161], v[12:13], v[32:33]
	v_add_f64_e32 v[162:163], v[24:25], v[20:21]
	;; [unrolled: 1-line block ×3, first 2 shown]
	v_add_f64_e64 v[130:131], v[8:9], -v[36:37]
	v_add_f64_e64 v[134:135], v[28:29], -v[16:17]
	;; [unrolled: 1-line block ×12, first 2 shown]
	v_add_f64_e32 v[152:153], v[16:17], v[36:37]
	v_add_f64_e32 v[156:157], v[28:29], v[8:9]
	v_add_f64_e64 v[164:165], v[22:23], -v[26:27]
	v_add_f64_e64 v[166:167], v[34:35], -v[14:15]
	;; [unrolled: 1-line block ×4, first 2 shown]
	v_add_f64_e32 v[20:21], v[20:21], v[4:5]
	v_add_f64_e64 v[178:179], v[40:41], -v[76:77]
	v_add_f64_e64 v[180:181], v[52:53], -v[72:73]
	;; [unrolled: 1-line block ×3, first 2 shown]
	v_add_f64_e32 v[184:185], v[68:69], v[80:81]
	v_add_f64_e64 v[186:187], v[48:49], -v[68:69]
	v_add_f64_e32 v[188:189], v[48:49], v[64:65]
	v_add_f64_e64 v[205:206], v[64:65], -v[48:49]
	v_add_f64_e64 v[209:210], v[80:81], -v[68:69]
	v_add_f64_e32 v[235:236], v[112:113], v[116:117]
	s_mov_b32 s2, 0x134454ff
	s_mov_b32 s3, 0xbfee6f0e
	;; [unrolled: 1-line block ×3, first 2 shown]
	v_fma_f64 v[136:137], v[136:137], -0.5, v[6:7]
	v_fma_f64 v[138:139], v[138:139], -0.5, v[6:7]
	;; [unrolled: 1-line block ×6, first 2 shown]
	v_add_f64_e64 v[162:163], v[104:105], -v[108:109]
	v_fma_f64 v[172:173], v[172:173], -0.5, v[102:103]
	s_wait_alu 0xfffe
	s_mov_b32 s14, s2
	v_add_f64_e32 v[176:177], v[8:9], v[0:1]
	v_add_f64_e64 v[207:208], v[80:81], -v[64:65]
	v_add_f64_e64 v[211:212], v[68:69], -v[48:49]
	;; [unrolled: 1-line block ×6, first 2 shown]
	v_add_f64_e32 v[221:222], v[72:73], v[76:77]
	v_add_f64_e32 v[223:224], v[52:53], v[40:41]
	v_add_f64_e64 v[229:230], v[66:67], -v[50:51]
	v_add_f64_e64 v[231:232], v[82:83], -v[70:71]
	;; [unrolled: 1-line block ×5, first 2 shown]
	v_add_f64_e32 v[130:131], v[134:135], v[130:131]
	v_add_f64_e32 v[132:133], v[132:133], v[126:127]
	;; [unrolled: 1-line block ×3, first 2 shown]
	v_add_f64_e64 v[128:129], v[116:117], -v[112:113]
	v_add_f64_e32 v[120:121], v[122:123], v[120:121]
	v_add_f64_e32 v[122:123], v[92:93], v[88:89]
	v_fma_f64 v[184:185], v[184:185], -0.5, v[60:61]
	v_add_f64_e32 v[142:143], v[144:145], v[142:143]
	v_fma_f64 v[188:189], v[188:189], -0.5, v[60:61]
	v_fma_f64 v[144:145], v[152:153], -0.5, v[0:1]
	v_add_f64_e32 v[148:149], v[150:151], v[148:149]
	v_fma_f64 v[0:1], v[156:157], -0.5, v[0:1]
	v_add_f64_e32 v[150:151], v[180:181], v[178:179]
	v_add_f64_e32 v[180:181], v[186:187], v[182:183]
	s_mov_b32 s6, 0x4755a5e
	v_fma_f64 v[239:240], v[168:169], s[14:15], v[136:137]
	v_fma_f64 v[241:242], v[174:175], s[2:3], v[138:139]
	;; [unrolled: 1-line block ×10, first 2 shown]
	v_fma_f64 v[160:161], v[235:236], -0.5, v[100:101]
	v_fma_f64 v[178:179], v[166:167], s[14:15], v[4:5]
	v_fma_f64 v[4:5], v[166:167], s[2:3], v[4:5]
	;; [unrolled: 1-line block ×4, first 2 shown]
	s_mov_b32 s7, 0xbfe2cf23
	s_mov_b32 s13, 0x3fe2cf23
	s_wait_alu 0xfffe
	s_mov_b32 s12, s6
	v_add_f64_e64 v[154:155], v[10:11], -v[30:31]
	v_add_f64_e64 v[158:159], v[38:39], -v[18:19]
	v_add_f64_e64 v[225:226], v[42:43], -v[54:55]
	v_add_f64_e64 v[227:228], v[78:79], -v[74:75]
	v_add_f64_e32 v[233:234], v[40:41], v[44:45]
	v_add_f64_e32 v[64:65], v[64:65], v[60:61]
	v_add_f64_e64 v[245:246], v[104:105], -v[116:117]
	v_add_f64_e64 v[247:248], v[108:109], -v[112:113]
	v_add_f64_e32 v[253:254], v[108:109], v[104:105]
	v_add_f64_e64 v[235:236], v[118:119], -v[114:115]
	v_add_f64_e64 v[60:61], v[86:87], -v[98:99]
	v_add_f64_e32 v[213:214], v[215:216], v[213:214]
	v_add_f64_e32 v[215:216], v[219:220], v[217:218]
	v_fma_f64 v[217:218], v[229:230], s[2:3], v[184:185]
	v_fma_f64 v[184:185], v[229:230], s[14:15], v[184:185]
	;; [unrolled: 1-line block ×4, first 2 shown]
	v_add_f64_e32 v[207:208], v[211:212], v[207:208]
	v_add_f64_e32 v[211:212], v[251:252], v[249:250]
	v_fma_f64 v[122:123], v[122:123], -0.5, v[56:57]
	v_fma_f64 v[186:187], v[174:175], s[12:13], v[239:240]
	v_fma_f64 v[239:240], v[168:169], s[12:13], v[241:242]
	;; [unrolled: 1-line block ×3, first 2 shown]
	v_add_f64_e32 v[168:169], v[110:111], v[106:107]
	v_fma_f64 v[136:137], v[174:175], s[6:7], v[136:137]
	v_fma_f64 v[174:175], v[221:222], -0.5, v[44:45]
	v_fma_f64 v[44:45], v[223:224], -0.5, v[44:45]
	v_fma_f64 v[134:135], v[209:210], s[12:13], v[134:135]
	v_fma_f64 v[140:141], v[209:210], s[6:7], v[140:141]
	v_add_f64_e32 v[209:210], v[84:85], v[56:57]
	v_fma_f64 v[221:222], v[205:206], s[12:13], v[126:127]
	v_fma_f64 v[146:147], v[205:206], s[6:7], v[146:147]
	v_add_f64_e32 v[205:206], v[104:105], v[100:101]
	v_fma_f64 v[152:153], v[166:167], s[6:7], v[152:153]
	v_fma_f64 v[156:157], v[166:167], s[12:13], v[156:157]
	;; [unrolled: 1-line block ×8, first 2 shown]
	s_mov_b32 s16, 0x372fe950
	s_mov_b32 s17, 0x3fd3c6ef
	v_add_f64_e64 v[190:191], v[76:77], -v[40:41]
	v_add_f64_e64 v[192:193], v[72:73], -v[52:53]
	;; [unrolled: 1-line block ×4, first 2 shown]
	v_add_f64_e32 v[223:224], v[36:37], v[176:177]
	v_add_f64_e32 v[241:242], v[32:33], v[20:21]
	v_fma_f64 v[249:250], v[154:155], s[2:3], v[144:145]
	v_fma_f64 v[144:145], v[154:155], s[14:15], v[144:145]
	;; [unrolled: 1-line block ×4, first 2 shown]
	v_add_f64_e64 v[126:127], v[90:91], -v[94:95]
	v_add_f64_e32 v[233:234], v[76:77], v[233:234]
	v_fma_f64 v[217:218], v[231:232], s[6:7], v[217:218]
	v_fma_f64 v[231:232], v[231:232], s[12:13], v[184:185]
	;; [unrolled: 1-line block ×3, first 2 shown]
	s_wait_alu 0xfffe
	v_fma_f64 v[0:1], v[142:143], s[16:17], v[186:187]
	v_fma_f64 v[20:21], v[148:149], s[16:17], v[239:240]
	;; [unrolled: 1-line block ×5, first 2 shown]
	v_add_f64_e32 v[136:137], v[80:81], v[64:65]
	v_fma_f64 v[138:139], v[225:226], s[2:3], v[174:175]
	v_fma_f64 v[142:143], v[225:226], s[14:15], v[174:175]
	;; [unrolled: 1-line block ×4, first 2 shown]
	v_add_f64_e32 v[245:246], v[247:248], v[245:246]
	v_fma_f64 v[247:248], v[253:254], -0.5, v[100:101]
	v_fma_f64 v[32:33], v[213:214], s[16:17], v[134:135]
	v_fma_f64 v[174:175], v[215:216], s[16:17], v[146:147]
	;; [unrolled: 1-line block ×3, first 2 shown]
	v_fma_f64 v[134:135], v[168:169], -0.5, v[102:103]
	v_add_f64_e32 v[140:141], v[88:89], v[209:210]
	v_add_f64_e32 v[146:147], v[116:117], v[205:206]
	v_fma_f64 v[205:206], v[60:61], s[2:3], v[122:123]
	v_fma_f64 v[122:123], v[60:61], s[14:15], v[122:123]
	;; [unrolled: 1-line block ×9, first 2 shown]
	v_add_f64_e32 v[168:169], v[16:17], v[223:224]
	v_add_f64_e32 v[12:13], v[12:13], v[241:242]
	v_fma_f64 v[209:210], v[158:159], s[6:7], v[249:250]
	v_fma_f64 v[144:145], v[158:159], s[12:13], v[144:145]
	;; [unrolled: 1-line block ×6, first 2 shown]
	v_add_f64_e32 v[156:157], v[192:193], v[190:191]
	v_fma_f64 v[190:191], v[180:181], s[16:17], v[217:218]
	v_fma_f64 v[100:101], v[180:181], s[16:17], v[231:232]
	v_mul_f64_e32 v[4:5], s[6:7], v[0:1]
	v_mul_f64_e32 v[120:121], s[2:3], v[20:21]
	;; [unrolled: 1-line block ×3, first 2 shown]
	v_fma_f64 v[192:193], v[207:208], s[16:17], v[219:220]
	v_mul_f64_e32 v[152:153], s[6:7], v[176:177]
	v_fma_f64 v[180:181], v[207:208], s[16:17], v[229:230]
	v_fma_f64 v[138:139], v[227:228], s[6:7], v[138:139]
	v_fma_f64 v[142:143], v[227:228], s[12:13], v[142:143]
	v_fma_f64 v[148:149], v[225:226], s[6:7], v[148:149]
	v_fma_f64 v[164:165], v[225:226], s[12:13], v[239:240]
	v_add_f64_e32 v[170:171], v[72:73], v[233:234]
	v_add_f64_e32 v[136:137], v[68:69], v[136:137]
	v_mul_f64_e32 v[201:202], s[6:7], v[32:33]
	v_mul_f64_e32 v[211:212], s[2:3], v[174:175]
	;; [unrolled: 1-line block ×3, first 2 shown]
	v_add_f64_e32 v[215:216], v[243:244], v[237:238]
	v_add_f64_e64 v[116:117], v[116:117], -v[104:105]
	v_add_f64_e64 v[217:218], v[112:113], -v[108:109]
	;; [unrolled: 1-line block ×4, first 2 shown]
	v_fma_f64 v[223:224], v[235:236], s[14:15], v[247:248]
	v_fma_f64 v[225:226], v[235:236], s[2:3], v[247:248]
	v_fma_f64 v[227:228], v[128:129], s[2:3], v[134:135]
	v_fma_f64 v[128:129], v[128:129], s[14:15], v[134:135]
	v_fma_f64 v[134:135], v[126:127], s[6:7], v[205:206]
	v_fma_f64 v[122:123], v[126:127], s[12:13], v[122:123]
	v_fma_f64 v[104:105], v[245:246], s[16:17], v[166:167]
	v_fma_f64 v[68:69], v[245:246], s[16:17], v[160:161]
	v_add_f64_e32 v[140:141], v[92:93], v[140:141]
	v_add_f64_e32 v[146:147], v[112:113], v[146:147]
	v_mul_f64_e32 v[160:161], s[6:7], v[184:185]
	v_mul_f64_e32 v[166:167], s[6:7], v[64:65]
	;; [unrolled: 1-line block ×3, first 2 shown]
	s_mov_b32 s0, 0x9b97f4a8
	s_mov_b32 s1, 0x3fe9e377
	;; [unrolled: 1-line block ×5, first 2 shown]
	s_wait_alu 0xfffe
	s_mov_b32 s20, s0
	v_fma_f64 v[205:206], v[130:131], s[16:17], v[209:210]
	v_fma_f64 v[209:210], v[130:131], s[16:17], v[144:145]
	v_fma_f64 v[158:159], v[132:133], s[16:17], v[158:159]
	v_fma_f64 v[154:155], v[132:133], s[16:17], v[154:155]
	v_add_f64_e32 v[144:145], v[28:29], v[168:169]
	v_add_f64_e32 v[12:13], v[24:25], v[12:13]
	v_fma_f64 v[4:5], v[186:187], s[0:1], v[4:5]
	v_fma_f64 v[24:25], v[188:189], s[16:17], v[120:121]
	;; [unrolled: 1-line block ×3, first 2 shown]
	s_wait_alu 0xfffe
	v_fma_f64 v[124:125], v[80:81], s[20:21], v[152:153]
	v_fma_f64 v[231:232], v[156:157], s[16:17], v[148:149]
	v_fma_f64 v[233:234], v[156:157], s[16:17], v[164:165]
	v_add_f64_e32 v[156:157], v[52:53], v[170:171]
	v_add_f64_e32 v[48:49], v[48:49], v[136:137]
	v_fma_f64 v[164:165], v[190:191], s[0:1], v[201:202]
	v_fma_f64 v[201:202], v[180:181], s[18:19], v[211:212]
	;; [unrolled: 1-line block ×3, first 2 shown]
	v_add_f64_e32 v[213:214], v[217:218], v[116:117]
	v_add_f64_e32 v[217:218], v[221:222], v[219:220]
	v_fma_f64 v[219:220], v[198:199], s[6:7], v[223:224]
	v_fma_f64 v[198:199], v[198:199], s[12:13], v[225:226]
	;; [unrolled: 1-line block ×8, first 2 shown]
	v_add_f64_e32 v[116:117], v[96:97], v[140:141]
	v_add_f64_e32 v[130:131], v[108:109], v[146:147]
	v_fma_f64 v[108:109], v[68:69], s[20:21], v[160:161]
	v_fma_f64 v[132:133], v[104:105], s[0:1], v[166:167]
	;; [unrolled: 1-line block ×3, first 2 shown]
	v_cmp_gt_u32_e64 s1, 45, v195
	v_add_f64_e32 v[134:135], v[12:13], v[144:145]
	v_add_f64_e64 v[140:141], v[144:145], -v[12:13]
	v_add_f64_e32 v[136:137], v[205:206], v[4:5]
	v_add_f64_e64 v[142:143], v[205:206], -v[4:5]
	v_add_f64_e64 v[144:145], v[158:159], -v[24:25]
	v_add_f64_e32 v[146:147], v[158:159], v[24:25]
	v_add_f64_e32 v[148:149], v[154:155], v[120:121]
	;; [unrolled: 1-line block ×3, first 2 shown]
	v_add_f64_e64 v[150:151], v[154:155], -v[120:121]
	v_add_f64_e64 v[152:153], v[209:210], -v[124:125]
	v_add_f64_e32 v[154:155], v[48:49], v[156:157]
	v_add_f64_e64 v[160:161], v[156:157], -v[48:49]
	v_add_f64_e64 v[208:209], v[233:234], -v[201:202]
	v_fma_f64 v[48:49], v[213:214], s[16:17], v[219:220]
	v_fma_f64 v[4:5], v[213:214], s[16:17], v[198:199]
	;; [unrolled: 1-line block ×4, first 2 shown]
	v_add_f64_e32 v[156:157], v[168:169], v[164:165]
	v_add_f64_e64 v[162:163], v[168:169], -v[164:165]
	v_add_f64_e32 v[168:169], v[233:234], v[201:202]
	v_add_f64_e64 v[122:123], v[116:117], -v[130:131]
	;; [unrolled: 2-line block ×3, first 2 shown]
	v_add_f64_e32 v[166:167], v[231:232], v[170:171]
	v_add_f64_e32 v[158:159], v[229:230], v[211:212]
	v_add_f64_e64 v[164:165], v[231:232], -v[170:171]
	v_add_f64_e64 v[210:211], v[229:230], -v[211:212]
	v_mul_u32_u24_e32 v170, 10, v195
	v_mul_i32_i24_e32 v171, 10, v255
	s_delay_alu instid0(VALU_DEP_2) | instskip(NEXT) | instid1(VALU_DEP_2)
	v_lshl_add_u32 v207, v170, 3, 0
	v_lshl_add_u32 v206, v171, 3, 0
	ds_store_b128 v207, v[134:137]
	ds_store_b128 v207, v[146:149] offset:16
	ds_store_b128 v207, v[138:141] offset:32
	;; [unrolled: 1-line block ×4, first 2 shown]
	ds_store_b128 v206, v[154:157]
	ds_store_b128 v206, v[166:169] offset:16
	ds_store_b128 v206, v[158:161] offset:32
	;; [unrolled: 1-line block ×4, first 2 shown]
	s_and_saveexec_b32 s0, s1
	s_cbranch_execz .LBB0_17
; %bb.16:
	v_add_f64_e32 v[134:135], v[96:97], v[84:85]
	v_add_f64_e64 v[136:137], v[92:93], -v[96:97]
	v_mul_f64_e32 v[140:141], s[2:3], v[12:13]
	v_add_f64_e32 v[132:133], v[128:129], v[132:133]
	v_add_f64_e32 v[130:131], v[130:131], v[116:117]
	v_fma_f64 v[56:57], v[134:135], -0.5, v[56:57]
	v_add_f64_e64 v[134:135], v[88:89], -v[84:85]
	s_delay_alu instid0(VALU_DEP_2) | instskip(SKIP_2) | instid1(VALU_DEP_4)
	v_fma_f64 v[138:139], v[126:127], s[2:3], v[56:57]
	v_fma_f64 v[56:57], v[126:127], s[14:15], v[56:57]
	v_mul_f64_e32 v[126:127], s[2:3], v[24:25]
	v_add_f64_e32 v[134:135], v[136:137], v[134:135]
	s_delay_alu instid0(VALU_DEP_4) | instskip(NEXT) | instid1(VALU_DEP_4)
	v_fma_f64 v[136:137], v[60:61], s[12:13], v[138:139]
	v_fma_f64 v[56:57], v[60:61], s[6:7], v[56:57]
	s_delay_alu instid0(VALU_DEP_4) | instskip(SKIP_4) | instid1(VALU_DEP_2)
	v_fma_f64 v[60:61], v[4:5], s[18:19], v[126:127]
	v_fma_f64 v[126:127], v[48:49], s[16:17], v[140:141]
	v_add_f64_e64 v[140:141], v[112:113], -v[108:109]
	v_fma_f64 v[138:139], v[134:135], s[16:17], v[136:137]
	v_fma_f64 v[56:57], v[134:135], s[16:17], v[56:57]
	v_add_f64_e32 v[136:137], v[138:139], v[60:61]
	s_delay_alu instid0(VALU_DEP_2)
	v_add_f64_e32 v[134:135], v[56:57], v[126:127]
	v_add_f64_e64 v[126:127], v[56:57], -v[126:127]
	v_add_f64_e64 v[138:139], v[138:139], -v[60:61]
	ds_store_b128 v207, v[130:133] offset:14400
	ds_store_b128 v207, v[134:137] offset:14416
	;; [unrolled: 1-line block ×5, first 2 shown]
.LBB0_17:
	s_wait_alu 0xfffe
	s_or_b32 exec_lo, exec_lo, s0
	v_mad_i32_i24 v205, 0xffffffb8, v195, v207
	global_wb scope:SCOPE_SE
	s_wait_storecnt_dscnt 0x0
	s_barrier_signal -1
	s_barrier_wait -1
	global_inv scope:SCOPE_SE
	v_add_nc_u32_e32 v56, 0x1000, v205
	v_add_nc_u32_e32 v57, 0x2800, v205
	v_add_nc_u32_e32 v60, 0x1800, v205
	v_add_nc_u32_e32 v61, 0x3000, v205
	ds_load_2addr_b64 v[126:129], v205 offset1:180
	ds_load_2addr_b64 v[130:133], v56 offset0:118 offset1:238
	v_add_nc_u32_e32 v56, 0x800, v205
	ds_load_2addr_b64 v[142:145], v57 offset0:100 offset1:220
	ds_load_2addr_b64 v[162:165], v60 offset0:72 offset1:162
	;; [unrolled: 1-line block ×4, first 2 shown]
	v_add_nc_u32_e32 v56, 0x1c00, v205
	v_add_nc_u32_e32 v60, 0x3400, v205
	;; [unrolled: 1-line block ×4, first 2 shown]
	v_mad_i32_i24 v57, 0xffffffb8, v255, v206
	v_add_nc_u32_e32 v109, 0x3800, v205
	ds_load_2addr_b64 v[158:161], v56 offset0:124 offset1:214
	ds_load_2addr_b64 v[150:153], v60 offset0:106 offset1:196
	;; [unrolled: 1-line block ×5, first 2 shown]
	ds_load_b64 v[56:57], v57
	ds_load_b64 v[60:61], v205 offset:17040
	v_cmp_gt_u32_e64 s0, 30, v195
	s_delay_alu instid0(VALU_DEP_1)
	s_and_saveexec_b32 s2, s0
	s_cbranch_execz .LBB0_19
; %bb.18:
	ds_load_b64 v[120:121], v205 offset:5760
	ds_load_b64 v[122:123], v205 offset:11760
	ds_load_b64 v[124:125], v205 offset:17760
.LBB0_19:
	s_wait_alu 0xfffe
	s_or_b32 exec_lo, exec_lo, s2
	v_add_f64_e32 v[108:109], v[18:19], v[38:39]
	v_add_f64_e32 v[112:113], v[30:31], v[10:11]
	;; [unrolled: 1-line block ×6, first 2 shown]
	v_add_f64_e64 v[28:29], v[8:9], -v[28:29]
	v_add_f64_e64 v[16:17], v[36:37], -v[16:17]
	v_add_f64_e32 v[8:9], v[22:23], v[6:7]
	v_add_f64_e32 v[22:23], v[42:43], v[46:47]
	;; [unrolled: 1-line block ×5, first 2 shown]
	v_add_f64_e64 v[40:41], v[40:41], -v[52:53]
	v_add_f64_e64 v[72:73], v[76:77], -v[72:73]
	;; [unrolled: 1-line block ×3, first 2 shown]
	s_mov_b32 s2, 0x134454ff
	s_mov_b32 s3, 0x3fee6f0e
	;; [unrolled: 1-line block ×3, first 2 shown]
	s_wait_alu 0xfffe
	s_mov_b32 s6, s2
	v_add_f64_e64 v[84:85], v[10:11], -v[38:39]
	v_add_f64_e64 v[96:97], v[30:31], -v[18:19]
	;; [unrolled: 1-line block ×4, first 2 shown]
	s_mov_b32 s12, 0x4755a5e
	s_mov_b32 s18, 0x9b97f4a8
	;; [unrolled: 1-line block ×6, first 2 shown]
	s_wait_alu 0xfffe
	s_mov_b32 s16, s12
	s_mov_b32 s15, 0x3fd3c6ef
	v_mul_f64_e32 v[186:187], s[12:13], v[186:187]
	v_mul_f64_e32 v[188:189], s[2:3], v[188:189]
	s_wait_alu 0xfffe
	v_mul_f64_e32 v[178:179], s[14:15], v[178:179]
	v_mul_f64_e32 v[176:177], s[18:19], v[176:177]
	v_mul_f64_e32 v[190:191], s[12:13], v[190:191]
	v_mul_f64_e32 v[192:193], s[2:3], v[192:193]
	v_fma_f64 v[102:103], v[108:109], -0.5, v[2:3]
	v_fma_f64 v[2:3], v[112:113], -0.5, v[2:3]
	;; [unrolled: 1-line block ×5, first 2 shown]
	v_add_f64_e64 v[108:109], v[42:43], -v[78:79]
	v_add_f64_e32 v[38:39], v[38:39], v[201:202]
	v_add_f64_e64 v[42:43], v[78:79], -v[42:43]
	v_add_f64_e32 v[34:35], v[34:35], v[8:9]
	v_add_f64_e32 v[22:23], v[78:79], v[22:23]
	;; [unrolled: 1-line block ×5, first 2 shown]
	v_add_f64_e64 v[78:79], v[74:75], -v[54:55]
	v_add_f64_e64 v[8:9], v[88:89], -v[92:93]
	;; [unrolled: 1-line block ×5, first 2 shown]
	v_add_nc_u32_e32 v252, 0xb4, v195
	global_wb scope:SCOPE_SE
	s_wait_dscnt 0x0
	s_barrier_signal -1
	v_add_f64_e32 v[84:85], v[96:97], v[84:85]
	s_barrier_wait -1
	v_add_f64_e32 v[96:97], v[106:107], v[10:11]
	global_inv scope:SCOPE_SE
	v_fma_f64 v[0:1], v[0:1], s[18:19], v[186:187]
	v_fma_f64 v[20:21], v[20:21], s[14:15], v[188:189]
	v_fma_f64 v[80:81], v[80:81], s[12:13], -v[176:177]
	v_fma_f64 v[82:83], v[28:29], s[2:3], v[102:103]
	v_fma_f64 v[112:113], v[16:17], s[6:7], v[2:3]
	;; [unrolled: 1-line block ×10, first 2 shown]
	v_add_f64_e32 v[10:11], v[18:19], v[38:39]
	v_add_f64_e32 v[14:15], v[14:15], v[34:35]
	;; [unrolled: 1-line block ×8, first 2 shown]
	v_mul_f64_e32 v[66:67], s[18:19], v[172:173]
	v_fma_f64 v[38:39], v[16:17], s[12:13], v[82:83]
	v_fma_f64 v[62:63], v[28:29], s[12:13], v[112:113]
	;; [unrolled: 1-line block ×4, first 2 shown]
	v_add_f64_e32 v[82:83], v[92:93], v[88:89]
	v_fma_f64 v[78:79], v[40:41], s[12:13], v[170:171]
	v_fma_f64 v[40:41], v[40:41], s[16:17], v[46:47]
	;; [unrolled: 1-line block ×3, first 2 shown]
	v_mul_f64_e32 v[52:53], s[12:13], v[104:105]
	v_mul_f64_e32 v[72:73], s[18:19], v[184:185]
	v_fma_f64 v[88:89], v[8:9], s[16:17], v[198:199]
	v_fma_f64 v[76:77], v[8:9], s[12:13], v[76:77]
	;; [unrolled: 1-line block ×3, first 2 shown]
	v_mul_f64_e32 v[28:29], s[14:15], v[174:175]
	v_add_f64_e32 v[102:103], v[30:31], v[10:11]
	v_add_f64_e32 v[104:105], v[26:27], v[14:15]
	;; [unrolled: 1-line block ×6, first 2 shown]
	v_fma_f64 v[92:93], v[182:183], s[2:3], -v[178:179]
	v_fma_f64 v[110:111], v[32:33], s[18:19], v[190:191]
	v_fma_f64 v[112:113], v[44:45], s[14:15], v[192:193]
	v_fma_f64 v[100:101], v[100:101], s[12:13], -v[66:67]
	v_fma_f64 v[106:107], v[84:85], s[14:15], v[38:39]
	v_fma_f64 v[108:109], v[96:97], s[14:15], v[62:63]
	;; [unrolled: 1-line block ×8, first 2 shown]
	v_fma_f64 v[16:17], v[68:69], s[12:13], -v[72:73]
	v_fma_f64 v[18:19], v[82:83], s[14:15], v[88:89]
	v_fma_f64 v[26:27], v[82:83], s[14:15], v[76:77]
	v_fma_f64 v[96:97], v[96:97], s[14:15], v[2:3]
	v_fma_f64 v[114:115], v[180:181], s[2:3], -v[28:29]
	v_mul_i32_i24_e32 v28, 0xffffffb8, v255
	v_add_f64_e32 v[29:30], v[104:105], v[102:103]
	v_add_f64_e64 v[35:36], v[102:103], -v[104:105]
	v_add_f64_e32 v[37:38], v[50:51], v[54:55]
	v_add_f64_e64 v[43:44], v[54:55], -v[50:51]
	v_add_f64_e64 v[2:3], v[10:11], -v[14:15]
	v_add_f64_e32 v[31:32], v[106:107], v[0:1]
	v_add_f64_e32 v[50:51], v[108:109], v[20:21]
	v_add_f64_e64 v[62:63], v[106:107], -v[0:1]
	v_add_f64_e64 v[64:65], v[108:109], -v[20:21]
	v_add_f64_e32 v[33:34], v[84:85], v[80:81]
	v_add_f64_e64 v[68:69], v[84:85], -v[80:81]
	v_add_f64_e32 v[39:40], v[74:75], v[110:111]
	v_add_f64_e32 v[70:71], v[78:79], v[112:113]
	;; [unrolled: 1-line block ×3, first 2 shown]
	v_add_f64_e64 v[74:75], v[74:75], -v[110:111]
	v_add_f64_e32 v[0:1], v[18:19], v[16:17]
	v_add_f64_e64 v[20:21], v[26:27], -v[22:23]
	v_add_f64_e32 v[52:53], v[96:97], v[92:93]
	;; [unrolled: 2-line block ×3, first 2 shown]
	v_add_f64_e64 v[76:77], v[78:79], -v[112:113]
	v_add_f64_e64 v[78:79], v[116:117], -v[114:115]
	;; [unrolled: 1-line block ×3, first 2 shown]
	ds_store_b128 v207, v[29:32]
	ds_store_b128 v207, v[50:53] offset:16
	ds_store_b128 v207, v[33:36] offset:32
	;; [unrolled: 1-line block ×4, first 2 shown]
	ds_store_b128 v206, v[37:40]
	ds_store_b128 v206, v[70:73] offset:16
	ds_store_b128 v206, v[41:44] offset:32
	;; [unrolled: 1-line block ×4, first 2 shown]
	s_and_saveexec_b32 s18, s1
	s_cbranch_execz .LBB0_21
; %bb.20:
	v_add_f64_e32 v[29:30], v[98:99], v[86:87]
	v_add_f64_e64 v[31:32], v[90:91], -v[86:87]
	v_add_f64_e64 v[33:34], v[94:95], -v[98:99]
	v_mul_f64_e32 v[24:25], s[14:15], v[24:25]
	s_delay_alu instid0(VALU_DEP_4) | instskip(NEXT) | instid1(VALU_DEP_3)
	v_fma_f64 v[29:30], v[29:30], -0.5, v[58:59]
	v_add_f64_e32 v[31:32], v[33:34], v[31:32]
	s_delay_alu instid0(VALU_DEP_3) | instskip(SKIP_3) | instid1(VALU_DEP_1)
	v_fma_f64 v[24:25], v[4:5], s[2:3], -v[24:25]
	v_add_f64_e32 v[4:5], v[14:15], v[10:11]
	v_add_f64_e64 v[14:15], v[18:19], -v[16:17]
	v_mul_u32_u24_e32 v16, 10, v252
	v_lshl_add_u32 v16, v16, 3, 0
	v_fma_f64 v[35:36], v[8:9], s[6:7], v[29:30]
	v_fma_f64 v[8:9], v[8:9], s[2:3], v[29:30]
	v_mul_f64_e32 v[29:30], s[2:3], v[48:49]
	s_delay_alu instid0(VALU_DEP_3) | instskip(NEXT) | instid1(VALU_DEP_3)
	v_fma_f64 v[33:34], v[6:7], s[12:13], v[35:36]
	v_fma_f64 v[6:7], v[6:7], s[16:17], v[8:9]
	s_delay_alu instid0(VALU_DEP_3) | instskip(NEXT) | instid1(VALU_DEP_3)
	v_fma_f64 v[12:13], v[12:13], s[14:15], v[29:30]
	v_fma_f64 v[29:30], v[31:32], s[14:15], v[33:34]
	s_delay_alu instid0(VALU_DEP_3) | instskip(SKIP_1) | instid1(VALU_DEP_3)
	v_fma_f64 v[31:32], v[31:32], s[14:15], v[6:7]
	v_add_f64_e32 v[6:7], v[26:27], v[22:23]
	v_add_f64_e32 v[8:9], v[29:30], v[12:13]
	s_delay_alu instid0(VALU_DEP_3)
	v_add_f64_e32 v[10:11], v[31:32], v[24:25]
	v_add_f64_e64 v[22:23], v[29:30], -v[12:13]
	v_add_f64_e64 v[12:13], v[31:32], -v[24:25]
	ds_store_b128 v16, v[4:7]
	ds_store_b128 v16, v[8:11] offset:16
	ds_store_b128 v16, v[0:3] offset:32
	ds_store_b128 v16, v[20:23] offset:48
	ds_store_b128 v16, v[12:15] offset:64
.LBB0_21:
	s_wait_alu 0xfffe
	s_or_b32 exec_lo, exec_lo, s18
	v_add_nc_u32_e32 v4, 0x1000, v205
	v_add_nc_u32_e32 v12, 0x2800, v205
	;; [unrolled: 1-line block ×10, first 2 shown]
	global_wb scope:SCOPE_SE
	s_wait_dscnt 0x0
	s_barrier_signal -1
	s_barrier_wait -1
	global_inv scope:SCOPE_SE
	ds_load_2addr_b64 v[8:11], v205 offset1:180
	ds_load_2addr_b64 v[4:7], v4 offset0:118 offset1:238
	ds_load_2addr_b64 v[22:25], v12 offset0:100 offset1:220
	v_add_nc_u32_e32 v254, v206, v28
	ds_load_2addr_b64 v[38:41], v13 offset0:72 offset1:162
	ds_load_2addr_b64 v[42:45], v14 offset0:54 offset1:144
	;; [unrolled: 1-line block ×8, first 2 shown]
	ds_load_b64 v[50:51], v254
	ds_load_b64 v[52:53], v205 offset:17040
	s_and_saveexec_b32 s1, s0
	s_cbranch_execz .LBB0_23
; %bb.22:
	ds_load_b64 v[0:1], v205 offset:5760
	ds_load_b64 v[2:3], v205 offset:11760
	;; [unrolled: 1-line block ×3, first 2 shown]
.LBB0_23:
	s_wait_alu 0xfffe
	s_or_b32 exec_lo, exec_lo, s1
	v_and_b32_e32 v106, 0xff, v255
	v_and_b32_e32 v102, 0xffff, v252
	v_add_nc_u32_e32 v65, 0x1c2, v195
	v_and_b32_e32 v107, 0xff, v195
	v_add_nc_u32_e32 v64, 0x21c, v195
	v_mul_lo_u16 v54, 0xcd, v106
	v_mul_u32_u24_e32 v55, 0xcccd, v102
	v_add_nc_u32_e32 v251, 0x168, v195
	v_mul_lo_u16 v59, 0xcd, v107
	v_add_nc_u32_e32 v253, 0x10e, v195
	v_lshrrev_b16 v89, 11, v54
	v_lshrrev_b32_e32 v88, 19, v55
	v_and_b32_e32 v54, 0xffff, v65
	v_and_b32_e32 v55, 0xffff, v64
	;; [unrolled: 1-line block ×3, first 2 shown]
	v_mul_lo_u16 v58, v89, 10
	v_mul_lo_u16 v62, v88, 10
	v_mul_u32_u24_e32 v54, 0xcccd, v54
	v_mul_u32_u24_e32 v55, 0xcccd, v55
	v_lshrrev_b16 v172, 11, v59
	v_sub_nc_u16 v58, v255, v58
	v_sub_nc_u16 v62, v252, v62
	v_lshrrev_b32_e32 v174, 19, v54
	v_add_nc_u32_e32 v66, 0x276, v195
	v_mul_u32_u24_e32 v59, 0xcccd, v104
	v_and_b32_e32 v103, 0xff, v58
	v_and_b32_e32 v173, 0xffff, v62
	v_lshrrev_b32_e32 v175, 19, v55
	v_and_b32_e32 v105, 0xffff, v253
	v_and_b32_e32 v63, 0xffff, v66
	v_lshlrev_b32_e32 v62, 5, v103
	v_lshlrev_b32_e32 v54, 5, v173
	v_lshrrev_b32_e32 v177, 19, v59
	v_mul_lo_u16 v59, v175, 10
	v_add_nc_u32_e32 v67, 0x2d0, v195
	s_clause 0x3
	global_load_b128 v[90:93], v62, s[4:5]
	global_load_b128 v[108:111], v62, s[4:5] offset:16
	global_load_b128 v[112:115], v54, s[4:5]
	global_load_b128 v[116:119], v54, s[4:5] offset:16
	v_mul_lo_u16 v54, v172, 10
	v_mul_u32_u24_e32 v58, 0xcccd, v105
	v_mul_u32_u24_e32 v55, 0xcccd, v63
	v_and_b32_e32 v63, 0xffff, v67
	v_mul_lo_u16 v62, v177, 10
	v_sub_nc_u16 v54, v195, v54
	v_lshrrev_b32_e32 v176, 19, v58
	v_lshrrev_b32_e32 v194, 19, v55
	v_mul_lo_u16 v58, v174, 10
	v_sub_nc_u16 v62, v251, v62
	v_and_b32_e32 v196, 0xff, v54
	v_sub_nc_u16 v54, v64, v59
	v_mul_lo_u16 v55, v176, 10
	v_mul_lo_u16 v59, v194, 10
	v_sub_nc_u16 v58, v65, v58
	v_and_b32_e32 v248, 0xffff, v62
	v_and_b32_e32 v200, 0xffff, v54
	v_mul_u32_u24_e32 v54, 0xcccd, v63
	v_sub_nc_u16 v55, v253, v55
	v_sub_nc_u16 v59, v66, v59
	v_and_b32_e32 v197, 0xffff, v58
	v_lshlrev_b32_e32 v58, 5, v196
	v_lshrrev_b32_e32 v203, 19, v54
	v_and_b32_e32 v204, 0xffff, v55
	v_and_b32_e32 v249, 0xffff, v59
	v_lshlrev_b32_e32 v63, 5, v197
	v_lshlrev_b32_e32 v62, 5, v248
	v_mul_lo_u16 v54, v203, 10
	v_lshlrev_b32_e32 v55, 5, v204
	v_lshlrev_b32_e32 v64, 5, v200
	s_clause 0x1
	global_load_b128 v[178:181], v63, s[4:5]
	global_load_b128 v[182:185], v64, s[4:5]
	v_sub_nc_u16 v54, v67, v54
	s_clause 0x6
	global_load_b128 v[98:101], v58, s[4:5]
	global_load_b128 v[186:189], v58, s[4:5] offset:16
	global_load_b128 v[190:193], v55, s[4:5]
	global_load_b128 v[206:209], v62, s[4:5]
	global_load_b128 v[210:213], v63, s[4:5] offset:16
	global_load_b128 v[214:217], v55, s[4:5] offset:16
	global_load_b128 v[218:221], v62, s[4:5] offset:16
	v_and_b32_e32 v250, 0xffff, v54
	v_lshlrev_b32_e32 v54, 5, v249
	s_mov_b32 s2, 0xe8584caa
	s_mov_b32 s3, 0xbfebb67a
	s_mov_b32 s7, 0x3febb67a
	v_lshlrev_b32_e32 v55, 5, v250
	s_clause 0x4
	global_load_b128 v[222:225], v64, s[4:5] offset:16
	global_load_b128 v[226:229], v54, s[4:5]
	global_load_b128 v[230:233], v54, s[4:5] offset:16
	global_load_b128 v[234:237], v55, s[4:5] offset:16
	global_load_b128 v[238:241], v55, s[4:5]
	s_wait_alu 0xfffe
	s_mov_b32 s6, s2
	s_wait_loadcnt_dscnt 0x1109
	v_mul_f64_e32 v[54:55], v[38:39], v[92:93]
	s_wait_loadcnt_dscnt 0x1008
	v_mul_f64_e32 v[64:65], v[42:43], v[110:111]
	s_wait_loadcnt 0xf
	v_mul_f64_e32 v[58:59], v[40:41], v[114:115]
	s_wait_loadcnt 0xe
	v_mul_f64_e32 v[66:67], v[44:45], v[118:119]
	v_mul_f64_e32 v[246:247], v[162:163], v[92:93]
	;; [unrolled: 1-line block ×5, first 2 shown]
	s_wait_loadcnt_dscnt 0xd03
	v_mul_f64_e32 v[70:71], v[46:47], v[180:181]
	s_wait_loadcnt 0xc
	v_mul_f64_e32 v[72:73], v[48:49], v[184:185]
	s_wait_loadcnt 0xb
	;; [unrolled: 2-line block ×5, first 2 shown]
	v_mul_f64_e32 v[80:81], v[36:37], v[208:209]
	s_wait_loadcnt_dscnt 0x702
	v_mul_f64_e32 v[82:83], v[26:27], v[212:213]
	s_wait_loadcnt 0x6
	v_mul_f64_e32 v[84:85], v[30:31], v[216:217]
	s_wait_loadcnt 0x5
	v_mul_f64_e32 v[86:87], v[32:33], v[220:221]
	v_mul_f64_e32 v[100:101], v[132:133], v[100:101]
	s_wait_loadcnt 0x4
	v_mul_f64_e32 v[170:171], v[28:29], v[224:225]
	s_wait_loadcnt 0x3
	v_mul_f64_e32 v[198:199], v[22:23], v[228:229]
	s_wait_loadcnt_dscnt 0x200
	v_mul_f64_e32 v[201:202], v[52:53], v[232:233]
	s_wait_loadcnt 0x1
	v_mul_f64_e32 v[242:243], v[20:21], v[236:237]
	s_wait_loadcnt 0x0
	v_mul_f64_e32 v[244:245], v[2:3], v[240:241]
	v_mul_f64_e32 v[188:189], v[144:145], v[188:189]
	;; [unrolled: 1-line block ×3, first 2 shown]
	v_fma_f64 v[62:63], v[162:163], v[90:91], v[54:55]
	v_fma_f64 v[54:55], v[164:165], v[112:113], v[58:59]
	v_mul_f64_e32 v[162:163], v[146:147], v[212:213]
	v_mul_f64_e32 v[164:165], v[168:169], v[184:185]
	v_fma_f64 v[68:69], v[154:155], v[108:109], v[64:65]
	v_fma_f64 v[66:67], v[156:157], v[116:117], v[66:67]
	v_mul_f64_e32 v[154:155], v[148:149], v[224:225]
	v_mul_f64_e32 v[156:157], v[158:159], v[192:193]
	v_fma_f64 v[64:65], v[166:167], v[178:179], v[70:71]
	v_fma_f64 v[58:59], v[168:169], v[182:183], v[72:73]
	v_mul_f64_e32 v[166:167], v[150:151], v[216:217]
	v_fma_f64 v[94:95], v[132:133], v[98:99], v[74:75]
	v_fma_f64 v[96:97], v[144:145], v[186:187], v[76:77]
	;; [unrolled: 1-line block ×4, first 2 shown]
	v_mul_f64_e32 v[158:159], v[142:143], v[228:229]
	v_fma_f64 v[74:75], v[146:147], v[210:211], v[82:83]
	v_fma_f64 v[82:83], v[150:151], v[214:215], v[84:85]
	;; [unrolled: 1-line block ×3, first 2 shown]
	v_mul_f64_e32 v[146:147], v[124:125], v[236:237]
	v_mul_f64_e32 v[150:151], v[60:61], v[232:233]
	v_fma_f64 v[78:79], v[148:149], v[222:223], v[170:171]
	v_mul_f64_e32 v[148:149], v[122:123], v[240:241]
	v_fma_f64 v[84:85], v[142:143], v[226:227], v[198:199]
	v_fma_f64 v[92:93], v[60:61], v[230:231], v[201:202]
	;; [unrolled: 1-line block ×4, first 2 shown]
	v_mul_f64_e32 v[132:133], v[160:161], v[208:209]
	v_mul_f64_e32 v[144:145], v[152:153], v[220:221]
	v_fma_f64 v[98:99], v[6:7], v[98:99], -v[100:101]
	v_fma_f64 v[6:7], v[24:25], v[186:187], -v[188:189]
	;; [unrolled: 1-line block ×8, first 2 shown]
	v_add_f64_e32 v[90:91], v[62:63], v[68:69]
	v_add_f64_e32 v[108:109], v[54:55], v[66:67]
	v_fma_f64 v[34:35], v[34:35], v[190:191], -v[156:157]
	v_fma_f64 v[26:27], v[26:27], v[210:211], -v[162:163]
	v_fma_f64 v[28:29], v[28:29], v[222:223], -v[154:155]
	v_add_f64_e32 v[142:143], v[128:129], v[54:55]
	v_add_f64_e32 v[124:125], v[56:57], v[62:63]
	v_mul_u32_u24_e32 v168, 0xf0, v88
	v_mul_u32_u24_e32 v169, 0xf0, v174
	v_mul_u32_u24_e32 v170, 0xf0, v175
	v_mul_u32_u24_e32 v174, 0xf0, v177
	v_fma_f64 v[30:31], v[30:31], v[214:215], -v[166:167]
	v_add_f64_e32 v[118:119], v[126:127], v[94:95]
	v_add_f64_e32 v[48:49], v[94:95], v[96:97]
	v_mul_u32_u24_e32 v175, 0xf0, v194
	v_add_f64_e32 v[152:153], v[136:137], v[70:71]
	v_fma_f64 v[46:47], v[22:23], v[226:227], -v[158:159]
	v_add_f64_e32 v[110:111], v[64:65], v[74:75]
	v_add_f64_e32 v[112:113], v[72:73], v[82:83]
	;; [unrolled: 1-line block ×3, first 2 shown]
	v_fma_f64 v[60:61], v[20:21], v[234:235], -v[146:147]
	v_fma_f64 v[22:23], v[52:53], v[230:231], -v[150:151]
	v_add_f64_e32 v[116:117], v[58:59], v[78:79]
	v_fma_f64 v[52:53], v[2:3], v[238:239], -v[148:149]
	v_add_f64_e32 v[148:149], v[140:141], v[58:59]
	v_add_f64_e32 v[2:3], v[84:85], v[92:93]
	;; [unrolled: 1-line block ×4, first 2 shown]
	v_fma_f64 v[36:37], v[36:37], v[206:207], -v[132:133]
	v_fma_f64 v[32:33], v[32:33], v[218:219], -v[144:145]
	v_add_f64_e32 v[146:147], v[138:139], v[64:65]
	v_add_f64_e64 v[122:123], v[98:99], -v[6:7]
	v_add_f64_e32 v[150:151], v[134:135], v[72:73]
	v_add_f64_e64 v[132:133], v[100:101], -v[24:25]
	v_add_f64_e64 v[144:145], v[42:43], -v[38:39]
	v_fma_f64 v[90:91], v[90:91], -0.5, v[56:57]
	v_fma_f64 v[108:109], v[108:109], -0.5, v[128:129]
	v_and_b32_e32 v57, 0xffff, v89
	v_and_b32_e32 v56, 0xffff, v172
	v_mul_u32_u24_e32 v172, 0xf0, v176
	v_add_f64_e32 v[124:125], v[124:125], v[68:69]
	s_delay_alu instid0(VALU_DEP_4) | instskip(NEXT) | instid1(VALU_DEP_4)
	v_mul_u32_u24_e32 v171, 0xf0, v57
	v_mul_u32_u24_e32 v56, 0xf0, v56
	v_mul_lo_u16 v57, v203, 30
	v_add_f64_e64 v[156:157], v[34:35], -v[30:31]
	v_add_f64_e32 v[118:119], v[118:119], v[96:97]
	v_fma_f64 v[48:49], v[48:49], -0.5, v[126:127]
	v_add_f64_e64 v[126:127], v[40:41], -v[26:27]
	v_fma_f64 v[110:111], v[110:111], -0.5, v[138:139]
	v_fma_f64 v[112:113], v[112:113], -0.5, v[134:135]
	;; [unrolled: 1-line block ×3, first 2 shown]
	v_add_f64_e64 v[134:135], v[44:45], -v[28:29]
	v_add_f64_e64 v[136:137], v[46:47], -v[22:23]
	v_fma_f64 v[116:117], v[116:117], -0.5, v[140:141]
	v_add_f64_e32 v[138:139], v[142:143], v[66:67]
	v_add_f64_e32 v[142:143], v[148:149], v[78:79]
	v_fma_f64 v[2:3], v[2:3], -0.5, v[130:131]
	v_add_f64_e64 v[130:131], v[52:53], -v[60:61]
	v_fma_f64 v[20:21], v[20:21], -0.5, v[120:121]
	v_add_f64_e32 v[148:149], v[152:153], v[76:77]
	v_add_f64_e64 v[128:129], v[36:37], -v[32:33]
	v_add_f64_e32 v[140:141], v[146:147], v[74:75]
	v_add_f64_e32 v[146:147], v[150:151], v[82:83]
	;; [unrolled: 1-line block ×3, first 2 shown]
	v_fma_f64 v[154:155], v[144:145], s[2:3], v[108:109]
	s_wait_alu 0xfffe
	v_fma_f64 v[144:145], v[144:145], s[6:7], v[108:109]
	v_lshlrev_b32_e32 v108, 3, v197
	v_lshlrev_b32_e32 v109, 3, v200
	s_delay_alu instid0(VALU_DEP_1)
	v_add3_u32 v109, 0, v170, v109
	v_fma_f64 v[152:153], v[122:123], s[2:3], v[48:49]
	v_fma_f64 v[48:49], v[122:123], s[6:7], v[48:49]
	;; [unrolled: 1-line block ×8, first 2 shown]
	v_add3_u32 v110, 0, v169, v108
	v_fma_f64 v[164:165], v[134:135], s[2:3], v[116:117]
	v_fma_f64 v[134:135], v[134:135], s[6:7], v[116:117]
	v_lshlrev_b32_e32 v108, 3, v250
	v_fma_f64 v[166:167], v[136:137], s[2:3], v[2:3]
	v_fma_f64 v[2:3], v[136:137], s[6:7], v[2:3]
	;; [unrolled: 1-line block ×6, first 2 shown]
	v_lshlrev_b32_e32 v20, 3, v196
	v_lshlrev_b32_e32 v21, 3, v103
	;; [unrolled: 1-line block ×3, first 2 shown]
	s_delay_alu instid0(VALU_DEP_3) | instskip(NEXT) | instid1(VALU_DEP_3)
	v_add3_u32 v113, 0, v56, v20
	v_add3_u32 v112, 0, v171, v21
	v_lshlrev_b32_e32 v20, 3, v204
	v_lshlrev_b32_e32 v21, 3, v248
	;; [unrolled: 1-line block ×3, first 2 shown]
	v_add3_u32 v111, 0, v168, v103
	s_delay_alu instid0(VALU_DEP_4) | instskip(NEXT) | instid1(VALU_DEP_4)
	v_add3_u32 v116, 0, v172, v20
	v_add3_u32 v115, 0, v174, v21
	s_delay_alu instid0(VALU_DEP_4)
	v_add3_u32 v114, 0, v175, v56
	scratch_store_b64 off, v[88:89], off    ; 8-byte Folded Spill
	global_wb scope:SCOPE_SE
	s_wait_storecnt 0x0
	s_barrier_signal -1
	s_barrier_wait -1
	global_inv scope:SCOPE_SE
	ds_store_2addr_b64 v113, v[118:119], v[152:153] offset1:10
	ds_store_b64 v113, v[48:49] offset:160
	ds_store_2addr_b64 v112, v[124:125], v[122:123] offset1:10
	ds_store_b64 v112, v[132:133] offset:160
	;; [unrolled: 2-line block ×8, first 2 shown]
	s_and_saveexec_b32 s1, s0
	s_cbranch_execz .LBB0_25
; %bb.24:
	scratch_load_b64 v[48:49], off, off     ; 8-byte Folded Reload
	v_add_f64_e32 v[2:3], v[120:121], v[86:87]
	v_and_b32_e32 v20, 0xffff, v57
	s_delay_alu instid0(VALU_DEP_1) | instskip(NEXT) | instid1(VALU_DEP_1)
	v_lshlrev_b32_e32 v20, 3, v20
	v_add3_u32 v20, 0, v108, v20
	s_delay_alu instid0(VALU_DEP_4)
	v_add_f64_e32 v[2:3], v[2:3], v[80:81]
	s_wait_loadcnt 0x0
	ds_store_2addr_b64 v20, v[2:3], v[48:49] offset1:10
	ds_store_b64 v20, v[90:91] offset:160
.LBB0_25:
	s_wait_alu 0xfffe
	s_or_b32 exec_lo, exec_lo, s1
	v_add_f64_e32 v[2:3], v[98:99], v[6:7]
	v_add_f64_e32 v[48:49], v[42:43], v[38:39]
	;; [unrolled: 1-line block ×10, first 2 shown]
	v_add_f64_e64 v[94:95], v[94:95], -v[96:97]
	v_add_f64_e32 v[42:43], v[10:11], v[42:43]
	v_add_f64_e64 v[64:65], v[64:65], -v[74:75]
	v_add_f64_e32 v[96:97], v[50:51], v[100:101]
	v_add_f64_e64 v[62:63], v[62:63], -v[68:69]
	v_add_f64_e64 v[54:55], v[54:55], -v[66:67]
	v_add_f64_e32 v[34:35], v[12:13], v[34:35]
	v_add_f64_e32 v[36:37], v[14:15], v[36:37]
	v_add_f64_e64 v[66:67], v[70:71], -v[76:77]
	v_add_f64_e32 v[40:41], v[16:17], v[40:41]
	v_add_f64_e32 v[44:45], v[18:19], v[44:45]
	v_add_f64_e32 v[46:47], v[4:5], v[46:47]
	v_add_f64_e64 v[58:59], v[58:59], -v[78:79]
	v_add_f64_e64 v[68:69], v[84:85], -v[92:93]
	v_add_nc_u32_e32 v200, 0xc00, v205
	v_add_nc_u32_e32 v194, 0x1800, v205
	;; [unrolled: 1-line block ×4, first 2 shown]
	global_wb scope:SCOPE_SE
	s_wait_dscnt 0x0
	s_barrier_signal -1
	s_barrier_wait -1
	global_inv scope:SCOPE_SE
	scratch_store_b32 off, v254, off offset:20 ; 4-byte Folded Spill
	v_add_nc_u32_e32 v88, 0x1c00, v205
	v_add_nc_u32_e32 v89, 0x3800, v205
	;; [unrolled: 1-line block ×5, first 2 shown]
	v_fma_f64 v[8:9], v[2:3], -0.5, v[8:9]
	v_fma_f64 v[10:11], v[48:49], -0.5, v[10:11]
	v_add_f64_e64 v[48:49], v[72:73], -v[82:83]
	v_add_f64_e64 v[72:73], v[86:87], -v[80:81]
	v_fma_f64 v[74:75], v[127:128], -0.5, v[0:1]
	v_fma_f64 v[20:21], v[20:21], -0.5, v[50:51]
	v_fma_f64 v[12:13], v[117:118], -0.5, v[12:13]
	v_fma_f64 v[14:15], v[119:120], -0.5, v[14:15]
	v_fma_f64 v[16:17], v[121:122], -0.5, v[16:17]
	v_fma_f64 v[18:19], v[123:124], -0.5, v[18:19]
	v_fma_f64 v[70:71], v[125:126], -0.5, v[4:5]
	v_add_f64_e32 v[76:77], v[98:99], v[6:7]
	v_add_f64_e32 v[80:81], v[42:43], v[38:39]
	;; [unrolled: 1-line block ×3, first 2 shown]
	ds_load_2addr_b64 v[2:5], v205 offset1:180
	ds_load_b64 v[50:51], v254
	v_add_f64_e32 v[82:83], v[34:35], v[30:31]
	v_add_f64_e32 v[84:85], v[36:37], v[32:33]
	;; [unrolled: 1-line block ×5, first 2 shown]
	v_fma_f64 v[117:118], v[94:95], s[6:7], v[8:9]
	v_fma_f64 v[119:120], v[94:95], s[2:3], v[8:9]
	;; [unrolled: 1-line block ×16, first 2 shown]
	v_add_nc_u32_e32 v54, 0x2c00, v205
	v_add_nc_u32_e32 v55, 0x4000, v205
	ds_load_2addr_b64 v[46:49], v200 offset0:66 offset1:156
	ds_load_2addr_b64 v[10:13], v194 offset0:42 offset1:132
	;; [unrolled: 1-line block ×11, first 2 shown]
	v_fma_f64 v[137:138], v[68:69], s[6:7], v[70:71]
	v_fma_f64 v[68:69], v[68:69], s[2:3], v[70:71]
	global_wb scope:SCOPE_SE
	s_wait_storecnt_dscnt 0x0
	s_barrier_signal -1
	s_barrier_wait -1
	global_inv scope:SCOPE_SE
	ds_store_2addr_b64 v113, v[76:77], v[117:118] offset1:10
	ds_store_b64 v113, v[119:120] offset:160
	ds_store_2addr_b64 v112, v[78:79], v[121:122] offset1:10
	ds_store_b64 v112, v[62:63] offset:160
	;; [unrolled: 2-line block ×8, first 2 shown]
	s_and_saveexec_b32 s1, s0
	s_cbranch_execz .LBB0_27
; %bb.26:
	v_add_f64_e32 v[0:1], v[0:1], v[52:53]
	v_and_b32_e32 v52, 0xffff, v57
	s_delay_alu instid0(VALU_DEP_1) | instskip(NEXT) | instid1(VALU_DEP_1)
	v_lshlrev_b32_e32 v52, 3, v52
	v_add3_u32 v52, 0, v108, v52
	s_delay_alu instid0(VALU_DEP_4)
	v_add_f64_e32 v[0:1], v[0:1], v[60:61]
	ds_store_2addr_b64 v52, v[0:1], v[94:95] offset1:10
	ds_store_b64 v52, v[92:93] offset:160
.LBB0_27:
	s_wait_alu 0xfffe
	s_or_b32 exec_lo, exec_lo, s1
	v_mul_lo_u16 v0, 0x89, v107
	v_mul_lo_u16 v1, 0x89, v106
	s_mov_b32 s2, 0x134454ff
	s_mov_b32 s3, 0xbfee6f0e
	;; [unrolled: 1-line block ×3, first 2 shown]
	v_lshrrev_b16 v52, 12, v0
	v_mul_u32_u24_e32 v0, 0x8889, v102
	v_lshrrev_b16 v53, 12, v1
	s_wait_alu 0xfffe
	s_mov_b32 s6, s2
	s_mov_b32 s12, 0x4755a5e
	v_mul_lo_u16 v1, v52, 30
	v_lshrrev_b32_e32 v102, 20, v0
	s_clause 0x1
	scratch_store_b32 off, v52, off offset:24
	scratch_store_b32 off, v53, off offset:28
	v_mul_lo_u16 v52, v53, 30
	v_mul_u32_u24_e32 v0, 0x8889, v105
	v_sub_nc_u16 v1, v195, v1
	v_mul_lo_u16 v53, v102, 30
	global_wb scope:SCOPE_SE
	s_wait_storecnt_dscnt 0x0
	v_sub_nc_u16 v52, v255, v52
	v_lshrrev_b32_e32 v155, 20, v0
	v_and_b32_e32 v153, 0xff, v1
	v_sub_nc_u16 v1, v252, v53
	v_mul_u32_u24_e32 v0, 0x8889, v104
	v_and_b32_e32 v154, 0xff, v52
	v_mul_lo_u16 v52, v155, 30
	v_lshlrev_b32_e32 v53, 6, v153
	v_and_b32_e32 v156, 0xffff, v1
	v_lshrrev_b32_e32 v157, 20, v0
	v_lshlrev_b32_e32 v65, 6, v154
	v_sub_nc_u16 v0, v253, v52
	s_barrier_signal -1
	v_lshlrev_b32_e32 v52, 6, v156
	s_barrier_wait -1
	scratch_store_b32 off, v255, off offset:16 ; 4-byte Folded Spill
	s_wait_storecnt 0x0
	global_inv scope:SCOPE_SE
	s_clause 0x9
	global_load_b128 v[57:60], v53, s[4:5] offset:320
	global_load_b128 v[61:64], v65, s[4:5] offset:320
	;; [unrolled: 1-line block ×10, first 2 shown]
	v_mul_lo_u16 v1, v157, 30
	v_and_b32_e32 v158, 0xffff, v0
	s_mov_b32 s13, 0xbfe2cf23
	s_mov_b32 s15, 0x3fe2cf23
	s_wait_alu 0xfffe
	s_mov_b32 s14, s12
	v_sub_nc_u16 v0, v251, v1
	v_lshlrev_b32_e32 v1, 6, v158
	s_clause 0x2
	global_load_b128 v[140:143], v52, s[4:5] offset:320
	global_load_b128 v[144:147], v1, s[4:5] offset:320
	;; [unrolled: 1-line block ×3, first 2 shown]
	v_and_b32_e32 v159, 0xffff, v0
	s_mov_b32 s16, 0x372fe950
	s_mov_b32 s17, 0x3fd3c6ef
	s_delay_alu instid0(VALU_DEP_1)
	v_lshlrev_b32_e32 v0, 6, v159
	s_clause 0x6
	global_load_b128 v[164:167], v1, s[4:5] offset:352
	global_load_b128 v[178:181], v1, s[4:5] offset:336
	global_load_b128 v[182:185], v1, s[4:5] offset:368
	global_load_b128 v[186:189], v0, s[4:5] offset:336
	global_load_b128 v[190:193], v0, s[4:5] offset:352
	global_load_b128 v[206:209], v0, s[4:5] offset:320
	global_load_b128 v[210:213], v0, s[4:5] offset:368
	ds_load_2addr_b64 v[214:217], v200 offset0:66 offset1:156
	ds_load_2addr_b64 v[218:221], v103 offset0:70 offset1:160
	;; [unrolled: 1-line block ×10, first 2 shown]
	s_wait_loadcnt_dscnt 0x1309
	v_mul_f64_e32 v[52:53], v[214:215], v[59:60]
	s_wait_loadcnt_dscnt 0xd06
	v_mul_f64_e32 v[86:87], v[228:229], v[68:69]
	v_mul_f64_e32 v[170:171], v[12:13], v[68:69]
	;; [unrolled: 1-line block ×7, first 2 shown]
	s_wait_loadcnt_dscnt 0xc05
	v_mul_f64_e32 v[104:105], v[230:231], v[118:119]
	s_wait_loadcnt 0xb
	v_mul_f64_e32 v[106:107], v[232:233], v[134:135]
	s_wait_loadcnt_dscnt 0xa04
	v_mul_f64_e32 v[108:109], v[236:237], v[138:139]
	v_mul_f64_e32 v[59:60], v[46:47], v[59:60]
	;; [unrolled: 1-line block ×3, first 2 shown]
	s_wait_loadcnt_dscnt 0x903
	v_mul_f64_e32 v[110:111], v[238:239], v[142:143]
	s_wait_loadcnt 0x8
	v_mul_f64_e32 v[114:115], v[240:241], v[146:147]
	s_wait_loadcnt_dscnt 0x702
	v_mul_f64_e32 v[120:121], v[242:243], v[162:163]
	v_mul_f64_e32 v[176:177], v[42:43], v[72:73]
	s_wait_loadcnt 0x6
	v_mul_f64_e32 v[122:123], v[244:245], v[166:167]
	s_wait_loadcnt_dscnt 0x501
	v_mul_f64_e32 v[168:169], v[246:247], v[180:181]
	s_wait_loadcnt_dscnt 0x400
	v_mul_f64_e32 v[198:199], v[250:251], v[184:185]
	s_wait_loadcnt 0x3
	v_mul_f64_e32 v[201:202], v[248:249], v[188:189]
	s_wait_loadcnt 0x2
	;; [unrolled: 2-line block ×4, first 2 shown]
	v_mul_f64_e32 v[172:173], v[252:253], v[212:213]
	v_mul_f64_e32 v[203:204], v[44:45], v[78:79]
	;; [unrolled: 1-line block ×5, first 2 shown]
	v_fma_f64 v[68:69], v[46:47], v[57:58], v[52:53]
	v_fma_f64 v[124:125], v[12:13], v[66:67], v[86:87]
	v_fma_f64 v[66:67], v[228:229], v[66:67], -v[170:171]
	scratch_load_b32 v228, off, off offset:20 ; 4-byte Folded Reload
	v_fma_f64 v[64:65], v[48:49], v[61:62], v[74:75]
	v_mul_f64_e32 v[46:47], v[16:17], v[138:139]
	v_fma_f64 v[98:99], v[42:43], v[70:71], v[80:81]
	v_fma_f64 v[74:75], v[44:45], v[76:77], v[82:83]
	v_mul_f64_e32 v[42:43], v[30:31], v[142:143]
	v_mul_f64_e32 v[44:45], v[32:33], v[146:147]
	v_fma_f64 v[78:79], v[38:39], v[96:97], v[54:55]
	v_fma_f64 v[72:73], v[40:41], v[128:129], v[84:85]
	v_mul_f64_e32 v[38:39], v[26:27], v[162:163]
	v_mul_f64_e32 v[40:41], v[28:29], v[166:167]
	v_fma_f64 v[112:113], v[34:35], v[116:117], v[104:105]
	v_fma_f64 v[80:81], v[36:37], v[132:133], v[106:107]
	;; [unrolled: 1-line block ×3, first 2 shown]
	v_mul_f64_e32 v[12:13], v[10:11], v[208:209]
	v_mul_f64_e32 v[16:17], v[22:23], v[180:181]
	v_fma_f64 v[86:87], v[30:31], v[140:141], v[110:111]
	v_fma_f64 v[82:83], v[32:33], v[144:145], v[114:115]
	v_mul_f64_e32 v[30:31], v[24:25], v[188:189]
	v_fma_f64 v[104:105], v[26:27], v[160:161], v[120:121]
	v_mul_f64_e32 v[26:27], v[18:19], v[184:185]
	;; [unrolled: 2-line block ×4, first 2 shown]
	v_fma_f64 v[120:121], v[18:19], v[182:183], v[198:199]
	v_fma_f64 v[108:109], v[24:25], v[186:187], v[201:202]
	;; [unrolled: 1-line block ×5, first 2 shown]
	v_mul_f64_e32 v[48:49], v[36:37], v[134:135]
	v_fma_f64 v[130:131], v[214:215], v[57:58], -v[59:60]
	v_fma_f64 v[114:115], v[216:217], v[61:62], -v[174:175]
	v_fma_f64 v[60:61], v[220:221], v[76:77], -v[203:204]
	v_fma_f64 v[54:55], v[230:231], v[116:117], -v[148:149]
	v_fma_f64 v[76:77], v[224:225], v[128:129], -v[100:101]
	v_fma_f64 v[58:59], v[218:219], v[70:71], -v[176:177]
	v_fma_f64 v[70:71], v[222:223], v[96:97], -v[0:1]
	v_add_f64_e64 v[34:35], v[68:69], -v[124:125]
	v_fma_f64 v[52:53], v[236:237], v[136:137], -v[46:47]
	v_add_f64_e32 v[0:1], v[124:125], v[98:99]
	v_fma_f64 v[116:117], v[238:239], v[140:141], -v[42:43]
	v_fma_f64 v[134:135], v[240:241], v[144:145], -v[44:45]
	v_add_f64_e32 v[14:15], v[78:79], v[74:75]
	v_add_f64_e32 v[42:43], v[50:51], v[64:65]
	v_fma_f64 v[62:63], v[242:243], v[160:161], -v[38:39]
	v_add_f64_e64 v[38:39], v[124:125], -v[68:69]
	v_add_f64_e64 v[146:147], v[112:113], -v[74:75]
	v_add_f64_e32 v[10:11], v[68:69], v[126:127]
	v_fma_f64 v[140:141], v[226:227], v[206:207], -v[12:13]
	v_fma_f64 v[136:137], v[246:247], v[178:179], -v[16:17]
	v_add_f64_e32 v[16:17], v[64:65], v[112:113]
	v_add_f64_e32 v[20:21], v[86:87], v[80:81]
	v_fma_f64 v[144:145], v[248:249], v[186:187], -v[30:31]
	v_add_f64_e32 v[18:19], v[72:73], v[104:105]
	v_fma_f64 v[128:129], v[250:251], v[182:183], -v[26:27]
	;; [unrolled: 2-line block ×4, first 2 shown]
	v_add_f64_e32 v[24:25], v[82:83], v[120:121]
	v_add_f64_e32 v[28:29], v[2:3], v[68:69]
	;; [unrolled: 1-line block ×5, first 2 shown]
	v_fma_f64 v[56:57], v[232:233], v[132:133], -v[48:49]
	v_add_f64_e32 v[48:49], v[6:7], v[82:83]
	v_fma_f64 v[132:133], v[244:245], v[164:165], -v[40:41]
	v_add_f64_e64 v[36:37], v[126:127], -v[98:99]
	v_add_f64_e64 v[40:41], v[98:99], -v[126:127]
	;; [unrolled: 1-line block ×8, first 2 shown]
	v_fma_f64 v[0:1], v[0:1], -0.5, v[2:3]
	v_add_f64_e64 v[170:171], v[72:73], -v[86:87]
	v_add_f64_e64 v[172:173], v[104:105], -v[80:81]
	;; [unrolled: 1-line block ×3, first 2 shown]
	v_fma_f64 v[14:15], v[14:15], -0.5, v[50:51]
	v_add_f64_e64 v[184:185], v[122:123], -v[110:111]
	v_add_f64_e64 v[148:149], v[76:77], -v[62:63]
	v_add_f64_e32 v[42:43], v[42:43], v[78:79]
	v_add_f64_e64 v[164:165], v[74:75], -v[112:113]
	v_add_f64_e64 v[174:175], v[82:83], -v[106:107]
	v_fma_f64 v[2:3], v[10:11], -0.5, v[2:3]
	v_add_f64_e64 v[10:11], v[64:65], -v[78:79]
	v_add_f64_e64 v[176:177], v[120:121], -v[84:85]
	v_fma_f64 v[16:17], v[16:17], -0.5, v[50:51]
	;; [unrolled: 3-line block ×3, first 2 shown]
	v_fma_f64 v[4:5], v[20:21], -0.5, v[4:5]
	v_add_f64_e32 v[46:47], v[46:47], v[72:73]
	v_add_f64_e64 v[20:21], v[134:135], -v[128:129]
	v_fma_f64 v[12:13], v[12:13], -0.5, v[6:7]
	v_add_f64_e64 v[162:163], v[144:145], -v[142:143]
	v_fma_f64 v[6:7], v[24:25], -0.5, v[6:7]
	;; [unrolled: 2-line block ×3, first 2 shown]
	v_add_f64_e32 v[28:29], v[28:29], v[124:125]
	v_fma_f64 v[8:9], v[22:23], -0.5, v[8:9]
	v_add_f64_e64 v[50:51], v[116:117], -v[56:57]
	v_add_f64_e32 v[96:97], v[96:97], v[108:109]
	v_add_f64_e64 v[22:23], v[78:79], -v[64:65]
	v_add_f64_e32 v[48:49], v[48:49], v[106:107]
	v_add_f64_e32 v[34:35], v[34:35], v[36:37]
	;; [unrolled: 1-line block ×3, first 2 shown]
	v_add_f64_e64 v[160:161], v[136:137], -v[132:133]
	v_add_f64_e64 v[186:187], v[108:109], -v[118:119]
	;; [unrolled: 1-line block ×3, first 2 shown]
	v_add_f64_e32 v[38:39], v[166:167], v[168:169]
	v_fma_f64 v[190:191], v[30:31], s[2:3], v[0:1]
	v_fma_f64 v[0:1], v[30:31], s[6:7], v[0:1]
	v_add_f64_e32 v[40:41], v[170:171], v[172:173]
	v_fma_f64 v[196:197], v[44:45], s[2:3], v[14:15]
	v_fma_f64 v[14:15], v[44:45], s[6:7], v[14:15]
	v_add_f64_e32 v[168:169], v[182:183], v[184:185]
	v_add_f64_e32 v[42:43], v[42:43], v[74:75]
	v_fma_f64 v[192:193], v[32:33], s[6:7], v[2:3]
	v_fma_f64 v[2:3], v[32:33], s[2:3], v[2:3]
	v_add_f64_e32 v[10:11], v[10:11], v[146:147]
	v_fma_f64 v[198:199], v[100:101], s[6:7], v[16:17]
	v_fma_f64 v[16:17], v[100:101], s[2:3], v[16:17]
	;; [unrolled: 3-line block ×4, first 2 shown]
	v_fma_f64 v[210:211], v[24:25], s[2:3], v[26:27]
	v_fma_f64 v[26:27], v[24:25], s[6:7], v[26:27]
	;; [unrolled: 1-line block ×6, first 2 shown]
	v_add_f64_e32 v[28:29], v[28:29], v[98:99]
	v_add_f64_e32 v[96:97], v[96:97], v[110:111]
	;; [unrolled: 1-line block ×5, first 2 shown]
	v_fma_f64 v[208:209], v[160:161], s[6:7], v[6:7]
	v_fma_f64 v[6:7], v[160:161], s[2:3], v[6:7]
	v_add_f64_e32 v[170:171], v[186:187], v[188:189]
	v_fma_f64 v[176:177], v[32:33], s[12:13], v[190:191]
	s_wait_alu 0xfffe
	v_fma_f64 v[0:1], v[32:33], s[14:15], v[0:1]
	v_fma_f64 v[14:15], v[100:101], s[14:15], v[14:15]
	;; [unrolled: 1-line block ×16, first 2 shown]
	ds_load_2addr_b64 v[48:51], v205 offset1:180
	v_add_f64_e32 v[26:27], v[28:29], v[126:127]
	v_add_f64_e32 v[28:29], v[42:43], v[112:113]
	;; [unrolled: 1-line block ×4, first 2 shown]
	v_fma_f64 v[160:161], v[20:21], s[12:13], v[208:209]
	v_fma_f64 v[6:7], v[20:21], s[14:15], v[6:7]
	;; [unrolled: 1-line block ×3, first 2 shown]
	v_add_f64_e32 v[162:163], v[174:175], v[120:121]
	v_fma_f64 v[174:175], v[34:35], s[16:17], v[176:177]
	v_fma_f64 v[0:1], v[34:35], s[16:17], v[0:1]
	s_wait_loadcnt 0x0
	ds_load_b64 v[146:147], v228
	ds_load_2addr_b64 v[44:47], v151 offset0:14 offset1:104
	v_fma_f64 v[96:97], v[168:169], s[16:17], v[24:25]
	s_clause 0x1
	scratch_load_b32 v24, off, off offset:24 th:TH_LOAD_LU
	scratch_load_b32 v25, off, off offset:28 th:TH_LOAD_LU
	v_fma_f64 v[32:33], v[36:37], s[16:17], v[32:33]
	v_fma_f64 v[2:3], v[36:37], s[16:17], v[2:3]
	;; [unrolled: 1-line block ×17, first 2 shown]
	v_lshlrev_b32_e32 v148, 3, v153
	v_lshlrev_b32_e32 v149, 3, v154
	v_mul_u32_u24_e32 v100, 0x4b0, v102
	v_mul_u32_u24_e32 v101, 0x4b0, v155
	v_mul_u32_u24_e32 v102, 0x4b0, v157
	v_lshlrev_b32_e32 v153, 3, v156
	v_lshlrev_b32_e32 v154, 3, v158
	;; [unrolled: 1-line block ×3, first 2 shown]
	v_add_nc_u32_e32 v160, 0x3000, v205
	v_add_nc_u32_e32 v161, 0x2400, v205
	global_wb scope:SCOPE_SE
	s_wait_loadcnt_dscnt 0x0
	s_barrier_signal -1
	s_barrier_wait -1
	global_inv scope:SCOPE_SE
	v_add3_u32 v155, 0, v100, v153
	v_add3_u32 v154, 0, v101, v154
	v_add3_u32 v153, 0, v102, v158
	v_and_b32_e32 v24, 0xffff, v24
	v_and_b32_e32 v25, 0xffff, v25
	s_delay_alu instid0(VALU_DEP_2) | instskip(NEXT) | instid1(VALU_DEP_2)
	v_mul_u32_u24_e32 v24, 0x4b0, v24
	v_mul_u32_u24_e32 v25, 0x4b0, v25
	s_delay_alu instid0(VALU_DEP_2) | instskip(NEXT) | instid1(VALU_DEP_2)
	v_add3_u32 v157, 0, v24, v148
	v_add3_u32 v156, 0, v25, v149
	ds_store_2addr_b64 v157, v[26:27], v[174:175] offset1:30
	ds_store_2addr_b64 v157, v[32:33], v[2:3] offset0:60 offset1:90
	ds_store_b64 v157, v[0:1] offset:960
	ds_store_2addr_b64 v156, v[28:29], v[30:31] offset1:30
	ds_store_2addr_b64 v156, v[14:15], v[16:17] offset0:60 offset1:90
	ds_store_b64 v156, v[10:11] offset:960
	;; [unrolled: 3-line block ×5, first 2 shown]
	global_wb scope:SCOPE_SE
	s_wait_dscnt 0x0
	s_barrier_signal -1
	s_barrier_wait -1
	global_inv scope:SCOPE_SE
	ds_load_2addr_b64 v[4:7], v205 offset1:180
	ds_load_2addr_b64 v[0:3], v152 offset0:118 offset1:238
	ds_load_2addr_b64 v[16:19], v103 offset0:100 offset1:220
	;; [unrolled: 1-line block ×10, first 2 shown]
	ds_load_b64 v[100:101], v228
	ds_load_b64 v[102:103], v205 offset:17040
	v_lshl_add_u32 v148, v195, 3, 0
	s_and_saveexec_b32 s1, s0
	s_cbranch_execz .LBB0_29
; %bb.28:
	ds_load_b64 v[88:89], v205 offset:11760
	s_wait_dscnt 0x0
	scratch_store_b64 off, v[88:89], off    ; 8-byte Folded Spill
	ds_load_b64 v[96:97], v148 offset:5760
	ds_load_b64 v[90:91], v205 offset:17760
.LBB0_29:
	s_wait_alu 0xfffe
	s_or_b32 exec_lo, exec_lo, s1
	v_add_f64_e32 v[149:150], v[66:67], v[58:59]
	v_add_f64_e32 v[151:152], v[130:131], v[52:53]
	;; [unrolled: 1-line block ×11, first 2 shown]
	v_add_f64_e64 v[68:69], v[68:69], -v[126:127]
	v_add_f64_e64 v[64:65], v[64:65], -v[112:113]
	v_add_f64_e32 v[112:113], v[50:51], v[116:117]
	v_add_f64_e32 v[182:183], v[44:45], v[134:135]
	;; [unrolled: 1-line block ×3, first 2 shown]
	v_add_f64_e64 v[98:99], v[124:125], -v[98:99]
	v_add_f64_e32 v[180:181], v[146:147], v[114:115]
	v_add_f64_e64 v[74:75], v[78:79], -v[74:75]
	v_add_f64_e64 v[80:81], v[86:87], -v[80:81]
	;; [unrolled: 1-line block ×15, first 2 shown]
	global_wb scope:SCOPE_SE
	s_wait_storecnt_dscnt 0x0
	s_barrier_signal -1
	s_barrier_wait -1
	global_inv scope:SCOPE_SE
	v_fma_f64 v[149:150], v[149:150], -0.5, v[48:49]
	v_fma_f64 v[48:49], v[151:152], -0.5, v[48:49]
	;; [unrolled: 1-line block ×10, first 2 shown]
	v_add_f64_e64 v[146:147], v[116:117], -v[76:77]
	v_add_f64_e64 v[116:117], v[76:77], -v[116:117]
	;; [unrolled: 1-line block ×6, first 2 shown]
	v_add_f64_e32 v[66:67], v[176:177], v[66:67]
	v_add_f64_e32 v[76:77], v[112:113], v[76:77]
	;; [unrolled: 1-line block ×5, first 2 shown]
	v_add_f64_e64 v[158:159], v[56:57], -v[62:63]
	v_add_f64_e64 v[162:163], v[62:63], -v[56:57]
	;; [unrolled: 1-line block ×6, first 2 shown]
	v_add_f64_e32 v[124:125], v[124:125], v[126:127]
	v_add_f64_e32 v[126:127], v[130:131], v[178:179]
	;; [unrolled: 1-line block ×4, first 2 shown]
	v_fma_f64 v[144:145], v[68:69], s[6:7], v[149:150]
	v_fma_f64 v[176:177], v[98:99], s[2:3], v[48:49]
	;; [unrolled: 1-line block ×20, first 2 shown]
	v_add_f64_e32 v[58:59], v[66:67], v[58:59]
	v_add_f64_e32 v[62:63], v[76:77], v[62:63]
	;; [unrolled: 1-line block ×11, first 2 shown]
	v_fma_f64 v[76:77], v[98:99], s[14:15], v[144:145]
	v_fma_f64 v[112:113], v[68:69], s[14:15], v[176:177]
	;; [unrolled: 1-line block ×20, first 2 shown]
	v_add_f64_e32 v[52:53], v[58:59], v[52:53]
	v_add_f64_e32 v[56:57], v[62:63], v[56:57]
	;; [unrolled: 1-line block ×5, first 2 shown]
	v_add_nc_u32_e32 v110, 0x1800, v205
	v_add_nc_u32_e32 v111, 0x800, v205
	v_fma_f64 v[62:63], v[124:125], s[16:17], v[76:77]
	v_fma_f64 v[70:71], v[126:127], s[16:17], v[112:113]
	;; [unrolled: 1-line block ×20, first 2 shown]
	v_add_nc_u32_e32 v108, 0x1000, v205
	v_add_nc_u32_e32 v109, 0x2800, v205
	;; [unrolled: 1-line block ×6, first 2 shown]
	ds_store_2addr_b64 v157, v[52:53], v[62:63] offset1:30
	ds_store_2addr_b64 v157, v[70:71], v[48:49] offset0:60 offset1:90
	ds_store_b64 v157, v[66:67] offset:960
	ds_store_2addr_b64 v156, v[54:55], v[68:69] offset1:30
	ds_store_2addr_b64 v156, v[76:77], v[64:65] offset0:60 offset1:90
	ds_store_b64 v156, v[74:75] offset:960
	;; [unrolled: 3-line block ×5, first 2 shown]
	global_wb scope:SCOPE_SE
	s_wait_dscnt 0x0
	s_barrier_signal -1
	s_barrier_wait -1
	global_inv scope:SCOPE_SE
	ds_load_2addr_b64 v[48:51], v205 offset1:180
	ds_load_2addr_b64 v[44:47], v108 offset0:118 offset1:238
	ds_load_2addr_b64 v[60:63], v109 offset0:100 offset1:220
	;; [unrolled: 1-line block ×10, first 2 shown]
	ds_load_b64 v[104:105], v228
	ds_load_b64 v[106:107], v205 offset:17040
	s_and_saveexec_b32 s1, s0
	s_cbranch_execz .LBB0_31
; %bb.30:
	ds_load_b64 v[94:95], v205 offset:11760
	ds_load_b64 v[98:99], v148 offset:5760
	;; [unrolled: 1-line block ×3, first 2 shown]
.LBB0_31:
	s_wait_alu 0xfffe
	s_or_b32 exec_lo, exec_lo, s1
	scratch_load_b32 v226, off, off offset:16 ; 4-byte Folded Reload
	v_subrev_nc_u32_e32 v110, 60, v195
	v_cmp_gt_u32_e64 s1, 60, v195
	v_dual_mov_b32 v109, 0 :: v_dual_lshlrev_b32 v108, 1, v195
	v_add_nc_u32_e32 v227, 0x10e, v195
	v_add_nc_u32_e32 v251, 0x168, v195
	;; [unrolled: 1-line block ×3, first 2 shown]
	s_mov_b32 s2, 0xe8584caa
	v_mov_b32_e32 v113, v109
	v_lshrrev_b16 v114, 1, v227
	s_mov_b32 s3, 0xbfebb67a
	s_mov_b32 s7, 0x3febb67a
	s_wait_alu 0xfffe
	s_mov_b32 s6, s2
	s_wait_loadcnt 0x0
	v_cndmask_b32_e64 v177, v110, v226, s1
	v_lshlrev_b64_e32 v[110:111], 4, v[108:109]
	v_add_nc_u32_e32 v108, 60, v108
	s_delay_alu instid0(VALU_DEP_3) | instskip(NEXT) | instid1(VALU_DEP_3)
	v_lshlrev_b32_e32 v112, 1, v177
	v_add_co_u32 v110, s1, s4, v110
	s_wait_alu 0xf1ff
	s_delay_alu instid0(VALU_DEP_4) | instskip(NEXT) | instid1(VALU_DEP_3)
	v_add_co_ci_u32_e64 v111, s1, s5, v111, s1
	v_lshlrev_b64_e32 v[112:113], 4, v[112:113]
	v_lshlrev_b64_e32 v[108:109], 4, v[108:109]
	s_clause 0x1
	global_load_b128 v[118:121], v[110:111], off offset:2256
	global_load_b128 v[122:125], v[110:111], off offset:2240
	v_add_co_u32 v110, s1, s4, v112
	s_wait_alu 0xf1ff
	v_add_co_ci_u32_e64 v111, s1, s5, v113, s1
	v_lshrrev_b16 v112, 1, v251
	v_add_co_u32 v108, s1, s4, v108
	s_clause 0x1
	global_load_b128 v[126:129], v[110:111], off offset:2256
	global_load_b128 v[130:133], v[110:111], off offset:2240
	v_and_b32_e32 v110, 0xffff, v114
	v_add_nc_u32_e32 v114, 0x1c2, v195
	s_wait_alu 0xf1ff
	v_add_co_ci_u32_e64 v109, s1, s5, v109, s1
	v_and_b32_e32 v111, 0xffff, v112
	v_add_nc_u32_e32 v113, 0x21c, v195
	v_lshrrev_b16 v112, 1, v114
	s_clause 0x1
	global_load_b128 v[134:137], v[108:109], off offset:2256
	global_load_b128 v[138:141], v[108:109], off offset:2240
	v_mul_u32_u24_e32 v108, 0xda75, v110
	v_mul_u32_u24_e32 v109, 0xda75, v111
	v_lshrrev_b16 v110, 1, v113
	v_and_b32_e32 v111, 0xffff, v112
	v_lshrrev_b16 v112, 1, v115
	v_lshrrev_b32_e32 v194, 22, v108
	v_lshrrev_b32_e32 v108, 22, v109
	v_and_b32_e32 v109, 0xffff, v110
	v_mul_u32_u24_e32 v110, 0xda75, v111
	v_and_b32_e32 v111, 0xffff, v112
	v_mul_lo_u16 v112, 0x96, v194
	v_mul_lo_u16 v108, 0x96, v108
	v_mul_u32_u24_e32 v109, 0xda75, v109
	v_lshrrev_b32_e32 v110, 22, v110
	v_mul_u32_u24_e32 v111, 0xda75, v111
	v_sub_nc_u16 v112, v227, v112
	v_sub_nc_u16 v108, v251, v108
	v_lshrrev_b32_e32 v204, 22, v109
	v_mul_lo_u16 v109, 0x96, v110
	v_lshrrev_b32_e32 v110, 22, v111
	v_and_b32_e32 v220, 0xffff, v112
	v_and_b32_e32 v221, 0xffff, v108
	v_mul_lo_u16 v108, 0x96, v204
	v_sub_nc_u16 v109, v114, v109
	v_mul_lo_u16 v110, 0x96, v110
	v_lshlrev_b32_e32 v111, 5, v220
	v_lshlrev_b32_e32 v112, 5, v221
	v_sub_nc_u16 v108, v113, v108
	v_and_b32_e32 v222, 0xffff, v109
	v_sub_nc_u16 v109, v115, v110
	s_clause 0x3
	global_load_b128 v[142:145], v111, s[4:5] offset:2256
	global_load_b128 v[149:152], v111, s[4:5] offset:2240
	;; [unrolled: 1-line block ×4, first 2 shown]
	v_and_b32_e32 v223, 0xffff, v108
	v_lshlrev_b32_e32 v108, 5, v222
	v_and_b32_e32 v224, 0xffff, v109
	v_cmp_lt_u32_e64 s1, 59, v195
	s_delay_alu instid0(VALU_DEP_4)
	v_lshlrev_b32_e32 v109, 5, v223
	global_load_b128 v[161:164], v108, s[4:5] offset:2240
	v_lshlrev_b32_e32 v110, 5, v224
	s_clause 0x4
	global_load_b128 v[165:168], v108, s[4:5] offset:2256
	global_load_b128 v[178:181], v109, s[4:5] offset:2240
	;; [unrolled: 1-line block ×5, first 2 shown]
	v_add_nc_u32_e32 v109, 0x2d0, v195
	s_delay_alu instid0(VALU_DEP_1) | instskip(NEXT) | instid1(VALU_DEP_1)
	v_lshrrev_b16 v108, 1, v109
	v_and_b32_e32 v108, 0xffff, v108
	s_delay_alu instid0(VALU_DEP_1) | instskip(NEXT) | instid1(VALU_DEP_1)
	v_mul_u32_u24_e32 v108, 0xda75, v108
	v_lshrrev_b32_e32 v108, 22, v108
	s_delay_alu instid0(VALU_DEP_1) | instskip(NEXT) | instid1(VALU_DEP_1)
	v_mul_lo_u16 v108, 0x96, v108
	v_sub_nc_u16 v108, v109, v108
	s_delay_alu instid0(VALU_DEP_1) | instskip(NEXT) | instid1(VALU_DEP_1)
	v_and_b32_e32 v225, 0xffff, v108
	v_lshlrev_b32_e32 v108, 5, v225
	s_clause 0x1
	global_load_b128 v[206:209], v108, s[4:5] offset:2240
	global_load_b128 v[210:213], v108, s[4:5] offset:2256
	scratch_load_b64 v[88:89], off, off th:TH_LOAD_LU ; 8-byte Folded Reload
	global_wb scope:SCOPE_SE
	s_wait_loadcnt_dscnt 0x0
	s_barrier_signal -1
	s_barrier_wait -1
	global_inv scope:SCOPE_SE
	v_mul_f64_e32 v[112:113], v[62:63], v[120:121]
	v_mul_f64_e32 v[108:109], v[46:47], v[124:125]
	;; [unrolled: 1-line block ×12, first 2 shown]
	v_fma_f64 v[112:113], v[18:19], v[118:119], v[112:113]
	v_fma_f64 v[110:111], v[2:3], v[122:123], v[108:109]
	v_mul_f64_e32 v[173:174], v[72:73], v[144:145]
	v_mul_f64_e32 v[171:172], v[76:77], v[151:152]
	;; [unrolled: 1-line block ×17, first 2 shown]
	v_fma_f64 v[2:3], v[42:43], v[138:139], v[114:115]
	v_fma_f64 v[114:115], v[40:41], v[130:131], v[116:117]
	;; [unrolled: 1-line block ×4, first 2 shown]
	v_mul_f64_e32 v[163:164], v[20:21], v[163:164]
	v_mul_f64_e32 v[188:189], v[16:17], v[188:189]
	;; [unrolled: 1-line block ×3, first 2 shown]
	v_fma_f64 v[80:81], v[80:81], v[130:131], -v[132:133]
	v_fma_f64 v[82:83], v[82:83], v[138:139], -v[140:141]
	;; [unrolled: 1-line block ×3, first 2 shown]
	v_add_f64_e32 v[130:131], v[4:5], v[110:111]
	v_fma_f64 v[38:39], v[32:33], v[142:143], v[173:174]
	v_fma_f64 v[28:29], v[28:29], v[149:150], v[171:172]
	;; [unrolled: 1-line block ×4, first 2 shown]
	v_fma_f64 v[76:77], v[76:77], v[149:150], -v[151:152]
	v_fma_f64 v[42:43], v[24:25], v[165:166], v[200:201]
	v_fma_f64 v[32:33], v[20:21], v[161:162], v[198:199]
	;; [unrolled: 1-line block ×6, first 2 shown]
	v_fma_f64 v[102:103], v[46:47], v[122:123], -v[124:125]
	v_fma_f64 v[16:17], v[62:63], v[118:119], -v[120:121]
	;; [unrolled: 1-line block ×3, first 2 shown]
	v_add_f64_e32 v[62:63], v[110:111], v[112:113]
	v_fma_f64 v[84:85], v[70:71], v[178:179], -v[180:181]
	v_fma_f64 v[70:71], v[66:67], v[182:183], -v[184:185]
	v_add_f64_e32 v[118:119], v[114:115], v[116:117]
	v_add_f64_e32 v[120:121], v[2:3], v[36:37]
	v_fma_f64 v[22:23], v[72:73], v[142:143], -v[144:145]
	v_fma_f64 v[72:73], v[78:79], v[157:158], -v[159:160]
	;; [unrolled: 1-line block ×7, first 2 shown]
	v_mul_f64_e32 v[106:107], v[94:95], v[208:209]
	v_mul_f64_e32 v[126:127], v[88:89], v[208:209]
	;; [unrolled: 1-line block ×3, first 2 shown]
	v_add_f64_e32 v[138:139], v[100:101], v[114:115]
	v_add_f64_e32 v[134:135], v[6:7], v[2:3]
	v_add_f64_e64 v[136:137], v[82:83], -v[18:19]
	s_wait_alu 0xf1ff
	v_cndmask_b32_e64 v155, 0, 0xe10, s1
	v_lshlrev_b32_e32 v156, 3, v177
	v_add_f64_e32 v[64:65], v[28:29], v[38:39]
	v_add_f64_e32 v[140:141], v[8:9], v[28:29]
	;; [unrolled: 1-line block ×10, first 2 shown]
	v_add_f64_e64 v[132:133], v[102:103], -v[16:17]
	v_add_f64_e64 v[151:152], v[80:81], -v[20:21]
	v_fma_f64 v[4:5], v[62:63], -0.5, v[4:5]
	v_fma_f64 v[100:101], v[118:119], -0.5, v[100:101]
	;; [unrolled: 1-line block ×3, first 2 shown]
	v_add_f64_e64 v[118:119], v[76:77], -v[22:23]
	v_add_f64_e64 v[153:154], v[78:79], -v[68:69]
	;; [unrolled: 1-line block ×3, first 2 shown]
	v_fma_f64 v[62:63], v[88:89], v[206:207], v[106:107]
	v_add_f64_e32 v[106:107], v[130:131], v[112:113]
	v_add3_u32 v89, 0, v155, v156
	v_lshl_add_u32 v88, v225, 3, 0
	v_fma_f64 v[8:9], v[64:65], -0.5, v[8:9]
	v_fma_f64 v[64:65], v[90:91], v[210:211], v[128:129]
	v_fma_f64 v[10:11], v[122:123], -0.5, v[10:11]
	v_add_f64_e64 v[122:123], v[84:85], -v[70:71]
	v_add_f64_e32 v[128:129], v[138:139], v[116:117]
	v_add_f64_e32 v[130:131], v[140:141], v[38:39]
	v_fma_f64 v[12:13], v[124:125], -0.5, v[12:13]
	v_add_f64_e64 v[124:125], v[86:87], -v[74:75]
	v_add_f64_e32 v[138:139], v[144:145], v[42:43]
	v_fma_f64 v[0:1], v[66:67], -0.5, v[0:1]
	v_mul_f64_e32 v[66:67], v[90:91], v[212:213]
	v_fma_f64 v[14:15], v[60:61], -0.5, v[14:15]
	v_fma_f64 v[60:61], v[94:95], v[206:207], -v[126:127]
	v_add_f64_e32 v[126:127], v[134:135], v[36:37]
	v_fma_f64 v[144:145], v[132:133], s[2:3], v[4:5]
	s_wait_alu 0xfffe
	v_fma_f64 v[4:5], v[132:133], s[6:7], v[4:5]
	v_add_f64_e32 v[140:141], v[146:147], v[108:109]
	v_fma_f64 v[132:133], v[151:152], s[2:3], v[100:101]
	v_fma_f64 v[100:101], v[151:152], s[6:7], v[100:101]
	;; [unrolled: 1-line block ×4, first 2 shown]
	v_add_f64_e32 v[134:135], v[142:143], v[40:41]
	v_add_f64_e32 v[142:143], v[149:150], v[26:27]
	v_lshlrev_b32_e32 v94, 3, v220
	v_lshl_add_u32 v90, v221, 3, 0
	v_lshl_add_u32 v91, v222, 3, 0
	v_add_nc_u32_e32 v95, 0xc00, v148
	s_delay_alu instid0(VALU_DEP_3) | instskip(NEXT) | instid1(VALU_DEP_3)
	v_add_nc_u32_e32 v151, 0x1c00, v90
	v_add_nc_u32_e32 v152, 0x2800, v91
	v_fma_f64 v[136:137], v[118:119], s[2:3], v[8:9]
	v_fma_f64 v[8:9], v[118:119], s[6:7], v[8:9]
	;; [unrolled: 1-line block ×6, first 2 shown]
	v_fma_f64 v[66:67], v[92:93], v[210:211], -v[66:67]
	v_fma_f64 v[120:121], v[122:123], s[2:3], v[14:15]
	v_fma_f64 v[14:15], v[122:123], s[6:7], v[14:15]
	;; [unrolled: 1-line block ×4, first 2 shown]
	v_mul_u32_u24_e32 v93, 0xe10, v194
	v_mul_u32_u24_e32 v124, 0xe10, v204
	v_lshlrev_b32_e32 v125, 3, v223
	v_lshl_add_u32 v92, v224, 3, 0
	s_delay_alu instid0(VALU_DEP_4) | instskip(NEXT) | instid1(VALU_DEP_3)
	v_add3_u32 v94, 0, v93, v94
	v_add3_u32 v93, 0, v124, v125
	s_delay_alu instid0(VALU_DEP_3)
	v_add_nc_u32_e32 v124, 0x3800, v92
	ds_store_2addr_b64 v205, v[106:107], v[144:145] offset1:150
	ds_store_b64 v205, v[4:5] offset:2400
	ds_store_2addr_b64 v89, v[128:129], v[132:133] offset1:150
	ds_store_b64 v89, v[100:101] offset:2400
	ds_store_2addr_b64 v95, v[126:127], v[146:147] offset0:96 offset1:246
	ds_store_b64 v148, v[6:7] offset:6240
	ds_store_2addr_b64 v94, v[130:131], v[136:137] offset1:150
	ds_store_b64 v94, v[8:9] offset:2400
	ds_store_2addr_b64 v151, v[134:135], v[118:119] offset0:4 offset1:154
	ds_store_2addr_b64 v152, v[138:139], v[149:150] offset0:70 offset1:220
	ds_store_b64 v90, v[10:11] offset:9600
	ds_store_b64 v91, v[12:13] offset:13200
	ds_store_2addr_b64 v93, v[140:141], v[120:121] offset1:150
	ds_store_b64 v93, v[14:15] offset:2400
	ds_store_2addr_b64 v124, v[142:143], v[122:123] offset0:8 offset1:158
	ds_store_b64 v92, v[0:1] offset:16800
	s_mov_b32 s1, exec_lo
	v_add_nc_u32_e32 v217, 0xb4, v195
	s_wait_alu 0xfffe
	s_and_b32 s12, s1, s0
	s_wait_alu 0xfffe
	s_mov_b32 exec_lo, s12
	s_cbranch_execz .LBB0_33
; %bb.32:
	v_add_f64_e32 v[0:1], v[62:63], v[64:65]
	v_add_f64_e64 v[4:5], v[60:61], -v[66:67]
	v_add_f64_e32 v[6:7], v[96:97], v[62:63]
	s_delay_alu instid0(VALU_DEP_3) | instskip(NEXT) | instid1(VALU_DEP_2)
	v_fma_f64 v[0:1], v[0:1], -0.5, v[96:97]
	v_add_f64_e32 v[6:7], v[6:7], v[64:65]
	s_delay_alu instid0(VALU_DEP_2)
	v_fma_f64 v[8:9], v[4:5], s[2:3], v[0:1]
	v_fma_f64 v[0:1], v[4:5], s[6:7], v[0:1]
	v_add_nc_u32_e32 v4, 0x3800, v88
	ds_store_2addr_b64 v4, v[6:7], v[8:9] offset0:8 offset1:158
	ds_store_b64 v88, v[0:1] offset:16800
.LBB0_33:
	s_or_b32 exec_lo, exec_lo, s1
	v_add_f64_e32 v[0:1], v[102:103], v[16:17]
	v_add_f64_e32 v[4:5], v[80:81], v[20:21]
	;; [unrolled: 1-line block ×9, first 2 shown]
	v_add_f64_e64 v[102:103], v[110:111], -v[112:113]
	v_add_f64_e32 v[72:73], v[54:55], v[72:73]
	v_add_f64_e32 v[86:87], v[44:45], v[86:87]
	;; [unrolled: 1-line block ×3, first 2 shown]
	v_add_f64_e64 v[106:107], v[114:115], -v[116:117]
	v_add_f64_e32 v[76:77], v[52:53], v[76:77]
	v_add_f64_e32 v[78:79], v[56:57], v[78:79]
	;; [unrolled: 1-line block ×3, first 2 shown]
	v_add_f64_e64 v[36:37], v[2:3], -v[36:37]
	v_add_f64_e32 v[84:85], v[58:59], v[84:85]
	v_add_f64_e64 v[28:29], v[28:29], -v[38:39]
	v_add_f64_e64 v[30:31], v[30:31], -v[40:41]
	v_add_f64_e64 v[32:33], v[32:33], -v[42:43]
	v_add_f64_e64 v[34:35], v[34:35], -v[108:109]
	v_add_f64_e64 v[24:25], v[24:25], -v[26:27]
	v_add_nc_u32_e32 v38, 0xc00, v205
	v_add_nc_u32_e32 v39, 0x1800, v205
	;; [unrolled: 1-line block ×6, first 2 shown]
	global_wb scope:SCOPE_SE
	s_wait_dscnt 0x0
	s_barrier_signal -1
	s_barrier_wait -1
	global_inv scope:SCOPE_SE
	ds_load_b64 v[132:133], v228
	v_add_nc_u32_e32 v97, 0x4000, v205
	v_add_nc_u32_e32 v114, 0xc00, v148
	;; [unrolled: 1-line block ×3, first 2 shown]
	v_fma_f64 v[48:49], v[0:1], -0.5, v[48:49]
	v_fma_f64 v[4:5], v[4:5], -0.5, v[104:105]
	;; [unrolled: 1-line block ×8, first 2 shown]
	v_add_f64_e32 v[50:51], v[100:101], v[16:17]
	v_add_nc_u32_e32 v44, 0x1000, v205
	v_add_f64_e32 v[58:59], v[72:73], v[46:47]
	v_add_f64_e32 v[72:73], v[86:87], v[74:75]
	;; [unrolled: 1-line block ×3, first 2 shown]
	v_add_nc_u32_e32 v45, 0x2c00, v205
	v_add_f64_e32 v[56:57], v[76:77], v[22:23]
	v_add_f64_e32 v[68:69], v[78:79], v[68:69]
	;; [unrolled: 1-line block ×3, first 2 shown]
	v_add_nc_u32_e32 v46, 0x2000, v205
	v_add_f64_e32 v[70:71], v[84:85], v[70:71]
	ds_load_2addr_b64 v[0:3], v205 offset1:180
	v_add_nc_u32_e32 v116, 0x2800, v91
	v_add_nc_u32_e32 v117, 0x3800, v92
	v_fma_f64 v[74:75], v[102:103], s[6:7], v[48:49]
	v_fma_f64 v[48:49], v[102:103], s[2:3], v[48:49]
	;; [unrolled: 1-line block ×9, first 2 shown]
	v_add_nc_u32_e32 v4, 0x800, v205
	v_fma_f64 v[100:101], v[32:33], s[6:7], v[12:13]
	v_fma_f64 v[102:103], v[30:31], s[2:3], v[10:11]
	;; [unrolled: 1-line block ×7, first 2 shown]
	ds_load_2addr_b64 v[8:11], v38 offset0:66 offset1:156
	ds_load_2addr_b64 v[16:19], v39 offset0:42 offset1:132
	;; [unrolled: 1-line block ×11, first 2 shown]
	global_wb scope:SCOPE_SE
	s_wait_dscnt 0x0
	s_barrier_signal -1
	s_barrier_wait -1
	global_inv scope:SCOPE_SE
	ds_store_2addr_b64 v205, v[50:51], v[74:75] offset1:150
	ds_store_b64 v205, v[48:49] offset:2400
	ds_store_2addr_b64 v89, v[52:53], v[76:77] offset1:150
	ds_store_b64 v89, v[78:79] offset:2400
	ds_store_2addr_b64 v114, v[54:55], v[80:81] offset0:96 offset1:246
	ds_store_b64 v148, v[82:83] offset:6240
	ds_store_2addr_b64 v94, v[56:57], v[84:85] offset1:150
	ds_store_b64 v94, v[86:87] offset:2400
	ds_store_2addr_b64 v115, v[58:59], v[95:96] offset0:4 offset1:154
	ds_store_2addr_b64 v116, v[68:69], v[100:101] offset0:70 offset1:220
	ds_store_b64 v90, v[102:103] offset:9600
	ds_store_b64 v91, v[104:105] offset:13200
	ds_store_2addr_b64 v93, v[70:71], v[106:107] offset1:150
	ds_store_b64 v93, v[108:109] offset:2400
	ds_store_2addr_b64 v117, v[72:73], v[110:111] offset0:8 offset1:158
	ds_store_b64 v92, v[112:113] offset:16800
	s_and_saveexec_b32 s1, s0
	s_cbranch_execz .LBB0_35
; %bb.34:
	v_add_f64_e32 v[48:49], v[60:61], v[66:67]
	v_add_f64_e64 v[50:51], v[62:63], -v[64:65]
	v_add_f64_e32 v[52:53], v[98:99], v[60:61]
	s_mov_b32 s3, 0x3febb67a
	s_mov_b32 s2, 0xe8584caa
	s_delay_alu instid0(VALU_DEP_3) | instskip(NEXT) | instid1(VALU_DEP_2)
	v_fma_f64 v[48:49], v[48:49], -0.5, v[98:99]
	v_add_f64_e32 v[52:53], v[52:53], v[66:67]
	s_wait_alu 0xfffe
	s_delay_alu instid0(VALU_DEP_2)
	v_fma_f64 v[54:55], v[50:51], s[2:3], v[48:49]
	s_mov_b32 s3, 0xbfebb67a
	s_wait_alu 0xfffe
	v_fma_f64 v[48:49], v[50:51], s[2:3], v[48:49]
	v_add_nc_u32_e32 v50, 0x3800, v88
	ds_store_2addr_b64 v50, v[52:53], v[54:55] offset0:8 offset1:158
	ds_store_b64 v88, v[48:49] offset:16800
.LBB0_35:
	s_wait_alu 0xfffe
	s_or_b32 exec_lo, exec_lo, s1
	global_wb scope:SCOPE_SE
	s_wait_dscnt 0x0
	s_barrier_signal -1
	s_barrier_wait -1
	global_inv scope:SCOPE_SE
	s_and_saveexec_b32 s0, vcc_lo
	s_cbranch_execz .LBB0_37
; %bb.36:
	v_dual_mov_b32 v81, 0 :: v_dual_lshlrev_b32 v80, 2, v251
	v_add_nc_u32_e32 v211, 0x3de, v195
	v_add_nc_u32_e32 v212, 0x5a0, v195
	;; [unrolled: 1-line block ×4, first 2 shown]
	v_lshlrev_b64_e32 v[48:49], 4, v[80:81]
	v_mad_co_u64_u32 v[198:199], null, s8, v211, 0
	v_lshlrev_b32_e32 v80, 2, v227
	v_mad_co_u64_u32 v[200:201], null, s8, v212, 0
	s_delay_alu instid0(VALU_DEP_4) | instskip(NEXT) | instid1(VALU_DEP_3)
	v_add_co_u32 v68, vcc_lo, s4, v48
	v_lshlrev_b64_e32 v[50:51], 4, v[80:81]
	v_lshlrev_b32_e32 v80, 2, v217
	v_mad_co_u64_u32 v[202:203], null, s8, v216, 0
	s_wait_alu 0xfffd
	v_add_co_ci_u32_e32 v69, vcc_lo, s5, v49, vcc_lo
	s_delay_alu instid0(VALU_DEP_3) | instskip(SKIP_4) | instid1(VALU_DEP_3)
	v_lshlrev_b64_e32 v[74:75], 4, v[80:81]
	v_lshlrev_b32_e32 v80, 2, v226
	v_add_co_u32 v72, vcc_lo, s4, v50
	s_wait_alu 0xfffd
	v_add_co_ci_u32_e32 v73, vcc_lo, s5, v51, vcc_lo
	v_lshlrev_b64_e32 v[96:97], 4, v[80:81]
	v_lshlrev_b32_e32 v80, 2, v195
	v_add_co_u32 v82, vcc_lo, s4, v74
	s_wait_alu 0xfffd
	v_add_co_ci_u32_e32 v83, vcc_lo, s5, v75, vcc_lo
	s_delay_alu instid0(VALU_DEP_3)
	v_lshlrev_b64_e32 v[80:81], 4, v[80:81]
	s_clause 0xb
	global_load_b128 v[52:55], v[68:69], off offset:7056
	global_load_b128 v[60:63], v[72:73], off offset:7056
	;; [unrolled: 1-line block ×12, first 2 shown]
	v_add_co_u32 v82, vcc_lo, s4, v96
	s_wait_alu 0xfffd
	v_add_co_ci_u32_e32 v83, vcc_lo, s5, v97, vcc_lo
	v_add_co_u32 v80, vcc_lo, s4, v80
	s_wait_alu 0xfffd
	v_add_co_ci_u32_e32 v81, vcc_lo, s5, v81, vcc_lo
	s_clause 0x7
	global_load_b128 v[104:107], v[82:83], off offset:7056
	global_load_b128 v[100:103], v[82:83], off offset:7040
	;; [unrolled: 1-line block ×8, first 2 shown]
	scratch_load_b64 v[136:137], off, off offset:8 th:TH_LOAD_LU ; 8-byte Folded Reload
	v_add_nc_u32_e32 v207, 0x384, v195
	v_add_nc_u32_e32 v208, 0x546, v195
	;; [unrolled: 1-line block ×6, first 2 shown]
	v_mad_co_u64_u32 v[171:172], null, s8, v195, 0
	v_add_nc_u32_e32 v143, 0x1800, v205
	v_mad_co_u64_u32 v[173:174], null, s8, v206, 0
	v_add_nc_u32_e32 v147, 0x3400, v205
	;; [unrolled: 2-line block ×3, first 2 shown]
	v_add_nc_u32_e32 v175, 0x3800, v205
	v_add_nc_u32_e32 v179, 0xc00, v205
	;; [unrolled: 1-line block ×3, first 2 shown]
	v_mad_co_u64_u32 v[189:190], null, s8, v208, 0
	v_add_nc_u32_e32 v155, 0x800, v205
	v_mad_co_u64_u32 v[191:192], null, s8, v215, 0
	v_add_nc_u32_e32 v159, 0x1000, v205
	v_mad_co_u64_u32 v[193:194], null, s8, v209, 0
	v_add_nc_u32_e32 v163, 0x2c00, v205
	v_mad_co_u64_u32 v[196:197], null, s8, v210, 0
	v_add_nc_u32_e32 v167, 0x1c00, v205
	ds_load_2addr_b64 v[80:83], v205 offset1:180
	ds_load_b64 v[134:135], v228
	ds_load_2addr_b64 v[139:142], v138 offset0:146 offset1:236
	ds_load_2addr_b64 v[143:146], v143 offset0:42 offset1:132
	;; [unrolled: 1-line block ×11, first 2 shown]
	v_mul_hi_u32 v204, 0x91a2b3c5, v217
	v_mul_hi_u32 v205, 0x91a2b3c5, v227
	v_mov_b32_e32 v138, v172
	v_mov_b32_e32 v172, v174
	;; [unrolled: 1-line block ×6, first 2 shown]
	v_dual_mov_b32 v194, v197 :: v_dual_mov_b32 v197, v199
	v_mov_b32_e32 v199, v201
	v_mov_b32_e32 v201, v203
	v_lshrrev_b32_e32 v213, 8, v204
	s_wait_dscnt 0xa
	v_mad_co_u64_u32 v[203:204], null, s9, v195, v[138:139]
	v_lshrrev_b32_e32 v214, 8, v205
	v_mad_co_u64_u32 v[204:205], null, s9, v206, v[172:173]
	s_wait_dscnt 0x2
	v_mad_co_u64_u32 v[205:206], null, s9, v207, v[174:175]
	v_mad_co_u64_u32 v[206:207], null, s9, v208, v[188:189]
	v_mov_b32_e32 v172, v203
	v_mad_co_u64_u32 v[207:208], null, s9, v215, v[190:191]
	v_mov_b32_e32 v174, v204
	v_mad_co_u64_u32 v[208:209], null, s9, v209, v[192:193]
	v_mad_co_u64_u32 v[209:210], null, s9, v210, v[194:195]
	v_lshlrev_b64_e32 v[171:172], 4, v[171:172]
	v_mad_co_u64_u32 v[210:211], null, s9, v211, v[197:198]
	v_mov_b32_e32 v188, v205
	v_mad_u32_u24 v215, 0x708, v213, v217
	v_lshlrev_b64_e32 v[173:174], 4, v[173:174]
	v_mov_b32_e32 v190, v206
	v_mad_co_u64_u32 v[211:212], null, s9, v212, v[199:200]
	v_mad_co_u64_u32 v[212:213], null, s9, v216, v[201:202]
	v_lshlrev_b64_e32 v[187:188], 4, v[187:188]
	v_mad_u32_u24 v138, 0x708, v214, v227
	v_mad_co_u64_u32 v[213:214], null, s8, v215, 0
	v_add_nc_u32_e32 v221, 0x1c2, v215
	v_add_nc_u32_e32 v223, 0x384, v215
	v_dual_mov_b32 v192, v207 :: v_dual_add_nc_u32 v225, 0x546, v215
	v_mov_b32_e32 v199, v210
	v_lshlrev_b64_e32 v[189:190], 4, v[189:190]
	v_dual_mov_b32 v194, v208 :: v_dual_mov_b32 v197, v209
	v_mad_co_u64_u32 v[204:205], null, s8, v221, 0
	v_mad_co_u64_u32 v[206:207], null, s8, v223, 0
	;; [unrolled: 1-line block ×3, first 2 shown]
	v_lshlrev_b64_e32 v[191:192], 4, v[191:192]
	v_lshlrev_b64_e32 v[198:199], 4, v[198:199]
	v_add_nc_u32_e32 v228, 0x708, v215
	v_lshlrev_b64_e32 v[193:194], 4, v[193:194]
	v_lshlrev_b64_e32 v[195:196], 4, v[196:197]
	v_mov_b32_e32 v197, v214
	v_mov_b32_e32 v201, v211
	;; [unrolled: 1-line block ×3, first 2 shown]
	s_mov_b32 s6, 0x134454ff
	s_mov_b32 s7, 0x3fee6f0e
	v_mad_co_u64_u32 v[214:215], null, s9, v215, v[197:198]
	v_mov_b32_e32 v197, v205
	v_mov_b32_e32 v205, v207
	;; [unrolled: 1-line block ×3, first 2 shown]
	v_mad_co_u64_u32 v[210:211], null, s8, v228, 0
	v_lshlrev_b64_e32 v[200:201], 4, v[200:201]
	v_lshlrev_b64_e32 v[202:203], 4, v[202:203]
	s_delay_alu instid0(VALU_DEP_4)
	v_mad_co_u64_u32 v[225:226], null, s9, v225, v[207:208]
	v_lshlrev_b64_e32 v[213:214], 4, v[213:214]
	s_mov_b32 s13, 0xbfee6f0e
	v_mov_b32_e32 v209, v211
	s_wait_alu 0xfffe
	s_mov_b32 s12, s6
	s_mov_b32 s2, 0x4755a5e
	;; [unrolled: 1-line block ×4, first 2 shown]
	v_mad_co_u64_u32 v[228:229], null, s9, v228, v[209:210]
	v_mov_b32_e32 v209, v225
	s_wait_alu 0xfffe
	s_mov_b32 s4, s2
	s_mov_b32 s0, 0x372fe950
	;; [unrolled: 1-line block ×3, first 2 shown]
	s_wait_loadcnt 0x14
	v_mul_f64_e32 v[211:212], v[46:47], v[54:55]
	v_mul_f64_e32 v[54:55], v[141:142], v[54:55]
	s_wait_loadcnt 0x13
	v_mul_f64_e32 v[215:216], v[44:45], v[62:63]
	v_mul_f64_e32 v[62:63], v[139:140], v[62:63]
	;; [unrolled: 3-line block ×5, first 2 shown]
	v_mul_f64_e32 v[229:230], v[38:39], v[78:79]
	v_mul_f64_e32 v[78:79], v[165:166], v[78:79]
	s_wait_loadcnt 0xd
	v_mul_f64_e32 v[231:232], v[34:35], v[74:75]
	v_mul_f64_e32 v[74:75], v[161:162], v[74:75]
	s_wait_loadcnt 0x0
	v_add_co_u32 v136, vcc_lo, s10, v136
	s_wait_alu 0xfffd
	v_add_co_ci_u32_e32 v137, vcc_lo, s11, v137, vcc_lo
	s_delay_alu instid0(VALU_DEP_2) | instskip(SKIP_1) | instid1(VALU_DEP_2)
	v_add_co_u32 v171, vcc_lo, v136, v171
	s_wait_alu 0xfffd
	v_add_co_ci_u32_e32 v172, vcc_lo, v137, v172, vcc_lo
	v_add_co_u32 v173, vcc_lo, v136, v173
	s_wait_alu 0xfffd
	v_add_co_ci_u32_e32 v174, vcc_lo, v137, v174, vcc_lo
	;; [unrolled: 3-line block ×7, first 2 shown]
	v_add_co_u32 v198, vcc_lo, v136, v198
	v_fma_f64 v[141:142], v[52:53], v[141:142], -v[211:212]
	v_fma_f64 v[46:47], v[46:47], v[52:53], v[54:55]
	v_mul_f64_e32 v[52:53], v[30:31], v[94:95]
	s_delay_alu instid0(VALU_DEP_4)
	v_mad_co_u64_u32 v[221:222], null, s9, v221, v[197:198]
	v_mad_co_u64_u32 v[222:223], null, s9, v223, v[205:206]
	v_mul_f64_e32 v[223:224], v[12:13], v[66:67]
	v_mul_f64_e32 v[66:67], v[147:148], v[66:67]
	;; [unrolled: 1-line block ×3, first 2 shown]
	v_fma_f64 v[139:140], v[60:61], v[139:140], -v[215:216]
	v_mul_f64_e32 v[211:212], v[36:37], v[110:111]
	v_mul_f64_e32 v[215:216], v[26:27], v[86:87]
	v_fma_f64 v[44:45], v[44:45], v[60:61], v[62:63]
	v_mul_f64_e32 v[60:61], v[169:170], v[94:95]
	v_mul_f64_e32 v[62:63], v[163:164], v[110:111]
	;; [unrolled: 1-line block ×4, first 2 shown]
	v_fma_f64 v[94:95], v[56:57], v[153:154], -v[217:218]
	v_fma_f64 v[56:57], v[42:43], v[56:57], v[58:59]
	v_mul_f64_e32 v[42:43], v[28:29], v[106:107]
	v_mul_f64_e32 v[58:59], v[10:11], v[102:103]
	v_fma_f64 v[110:111], v[48:49], v[151:152], -v[219:220]
	v_mul_f64_e32 v[151:152], v[22:23], v[114:115]
	v_mul_f64_e32 v[153:154], v[24:25], v[98:99]
	v_fma_f64 v[217:218], v[40:41], v[48:49], v[50:51]
	v_mul_f64_e32 v[40:41], v[167:168], v[106:107]
	s_wait_dscnt 0x0
	v_mul_f64_e32 v[48:49], v[185:186], v[114:115]
	v_mul_f64_e32 v[50:51], v[181:182], v[102:103]
	;; [unrolled: 1-line block ×3, first 2 shown]
	v_fma_f64 v[106:107], v[68:69], v[143:144], -v[226:227]
	v_fma_f64 v[16:17], v[16:17], v[68:69], v[70:71]
	v_mul_f64_e32 v[68:69], v[20:21], v[130:131]
	v_fma_f64 v[114:115], v[76:77], v[165:166], -v[229:230]
	v_fma_f64 v[38:39], v[38:39], v[76:77], v[78:79]
	v_mul_f64_e32 v[76:77], v[145:146], v[118:119]
	v_mul_f64_e32 v[78:79], v[183:184], v[130:131]
	v_fma_f64 v[34:35], v[34:35], v[72:73], v[74:75]
	v_mul_f64_e32 v[74:75], v[149:150], v[126:127]
	v_mul_f64_e32 v[70:71], v[14:15], v[126:127]
	v_fma_f64 v[52:53], v[92:93], v[169:170], -v[52:53]
	v_mov_b32_e32 v205, v221
	v_mov_b32_e32 v207, v222
	s_wait_alu 0xfffd
	v_add_co_ci_u32_e32 v199, vcc_lo, v137, v199, vcc_lo
	v_fma_f64 v[102:103], v[64:65], v[147:148], -v[223:224]
	v_fma_f64 v[12:13], v[12:13], v[64:65], v[66:67]
	v_mul_f64_e32 v[64:65], v[18:19], v[118:119]
	v_fma_f64 v[118:119], v[72:73], v[161:162], -v[231:232]
	v_mul_f64_e32 v[66:67], v[8:9], v[122:123]
	v_mul_f64_e32 v[72:73], v[179:180], v[122:123]
	v_fma_f64 v[54:55], v[88:89], v[159:160], -v[54:55]
	v_fma_f64 v[147:148], v[108:109], v[163:164], -v[211:212]
	;; [unrolled: 1-line block ×3, first 2 shown]
	v_fma_f64 v[30:31], v[30:31], v[92:93], v[60:61]
	v_fma_f64 v[36:37], v[36:37], v[108:109], v[62:63]
	;; [unrolled: 1-line block ×4, first 2 shown]
	v_fma_f64 v[42:43], v[104:105], v[167:168], -v[42:43]
	v_fma_f64 v[58:59], v[100:101], v[181:182], -v[58:59]
	v_lshlrev_b64_e32 v[126:127], 4, v[204:205]
	v_fma_f64 v[60:61], v[112:113], v[185:186], -v[151:152]
	v_fma_f64 v[62:63], v[96:97], v[175:176], -v[153:154]
	v_lshlrev_b64_e32 v[130:131], 4, v[206:207]
	v_fma_f64 v[28:29], v[28:29], v[104:105], v[40:41]
	v_fma_f64 v[22:23], v[22:23], v[112:113], v[48:49]
	;; [unrolled: 1-line block ×4, first 2 shown]
	v_add_f64_e32 v[86:87], v[106:107], v[157:158]
	v_add_f64_e64 v[88:89], v[46:47], -v[16:17]
	v_fma_f64 v[50:51], v[128:129], v[183:184], -v[68:69]
	v_add_f64_e32 v[96:97], v[16:17], v[56:57]
	v_add_f64_e64 v[100:101], v[16:17], -v[46:47]
	v_fma_f64 v[18:19], v[18:19], v[116:117], v[76:77]
	v_fma_f64 v[20:21], v[20:21], v[128:129], v[78:79]
	v_add_f64_e64 v[76:77], v[106:107], -v[141:142]
	v_fma_f64 v[14:15], v[14:15], v[124:125], v[74:75]
	v_add_f64_e64 v[74:75], v[16:17], -v[56:57]
	v_add_f64_e32 v[16:17], v[6:7], v[16:17]
	v_add_f64_e64 v[92:93], v[106:107], -v[94:95]
	v_add_f64_e32 v[163:164], v[34:35], v[217:218]
	;; [unrolled: 2-line block ×3, first 2 shown]
	v_add_f64_e64 v[68:69], v[102:103], -v[94:95]
	v_add_f64_e64 v[90:91], v[12:13], -v[56:57]
	v_fma_f64 v[40:41], v[116:117], v[145:146], -v[64:65]
	v_add_f64_e32 v[151:152], v[118:119], v[155:156]
	v_fma_f64 v[48:49], v[120:121], v[179:180], -v[66:67]
	v_fma_f64 v[64:65], v[124:125], v[149:150], -v[70:71]
	v_fma_f64 v[8:9], v[8:9], v[120:121], v[72:73]
	v_add_f64_e64 v[128:129], v[118:119], -v[139:140]
	v_add_f64_e64 v[145:146], v[110:111], -v[114:115]
	;; [unrolled: 1-line block ×3, first 2 shown]
	v_add_f64_e32 v[72:73], v[106:107], v[94:95]
	v_add_f64_e32 v[106:107], v[46:47], v[12:13]
	v_add_f64_e64 v[108:109], v[139:140], -v[118:119]
	v_add_f64_e64 v[204:205], v[54:55], -v[52:53]
	;; [unrolled: 1-line block ×4, first 2 shown]
	v_add_f64_e32 v[120:121], v[118:119], v[110:111]
	v_add_f64_e64 v[124:125], v[34:35], -v[217:218]
	v_add_f64_e32 v[149:150], v[139:140], v[114:115]
	v_add_f64_e64 v[153:154], v[44:45], -v[34:35]
	v_add_f64_e64 v[161:162], v[38:39], -v[217:218]
	;; [unrolled: 1-line block ×4, first 2 shown]
	v_add_f64_e32 v[34:35], v[4:5], v[34:35]
	v_add_f64_e64 v[177:178], v[52:53], -v[54:55]
	v_add_f64_e64 v[179:180], v[147:148], -v[159:160]
	v_add_f64_e32 v[183:184], v[54:55], v[159:160]
	v_add_f64_e32 v[211:212], v[52:53], v[147:148]
	v_add_f64_e64 v[215:216], v[30:31], -v[32:33]
	v_add_f64_e64 v[219:220], v[36:37], -v[26:27]
	v_add_f64_e32 v[221:222], v[32:33], v[26:27]
	v_add_f64_e32 v[235:236], v[58:59], v[62:63]
	;; [unrolled: 1-line block ×4, first 2 shown]
	v_add_f64_e64 v[78:79], v[94:95], -v[102:103]
	v_add_f64_e32 v[84:85], v[141:142], v[102:103]
	v_add_f64_e64 v[98:99], v[141:142], -v[102:103]
	v_add_f64_e64 v[104:105], v[56:57], -v[12:13]
	;; [unrolled: 1-line block ×4, first 2 shown]
	v_add_f64_e32 v[46:47], v[40:41], v[50:51]
	v_add_f64_e32 v[139:140], v[139:140], v[151:152]
	;; [unrolled: 1-line block ×3, first 2 shown]
	v_add_f64_e64 v[223:224], v[32:33], -v[30:31]
	v_add_f64_e32 v[32:33], v[2:3], v[32:33]
	v_add_f64_e64 v[231:232], v[42:43], -v[58:59]
	v_add_f64_e64 v[233:234], v[60:61], -v[62:63]
	v_add_f64_e32 v[86:87], v[141:142], v[86:87]
	v_add_f64_e32 v[141:142], v[48:49], v[64:65]
	;; [unrolled: 1-line block ×4, first 2 shown]
	v_add_co_u32 v200, vcc_lo, v136, v200
	v_add_f64_e32 v[249:250], v[10:11], v[24:25]
	v_fma_f64 v[96:97], v[96:97], -0.5, v[6:7]
	v_fma_f64 v[6:7], v[106:107], -0.5, v[6:7]
	;; [unrolled: 1-line block ×3, first 2 shown]
	v_add_f64_e32 v[163:164], v[28:29], v[22:23]
	s_wait_alu 0xfffd
	v_add_co_ci_u32_e32 v201, vcc_lo, v137, v201, vcc_lo
	v_add_f64_e64 v[225:226], v[26:27], -v[36:37]
	v_add_co_u32 v202, vcc_lo, v136, v202
	s_wait_alu 0xfffd
	v_add_co_ci_u32_e32 v203, vcc_lo, v137, v203, vcc_lo
	v_add_co_u32 v143, vcc_lo, v136, v213
	v_add_f64_e32 v[229:230], v[30:31], v[36:37]
	s_wait_alu 0xfffd
	v_add_co_ci_u32_e32 v144, vcc_lo, v137, v214, vcc_lo
	v_add_f64_e32 v[213:214], v[54:55], v[82:83]
	v_fma_f64 v[4:5], v[169:170], -0.5, v[4:5]
	v_add_f64_e32 v[169:170], v[132:133], v[10:11]
	v_add_f64_e32 v[108:109], v[108:109], v[112:113]
	;; [unrolled: 1-line block ×5, first 2 shown]
	v_add_f64_e64 v[116:117], v[44:45], -v[38:39]
	v_add_f64_e32 v[243:244], v[58:59], v[134:135]
	v_add_f64_e64 v[245:246], v[28:29], -v[10:11]
	v_fma_f64 v[120:121], v[120:121], -0.5, v[155:156]
	v_fma_f64 v[149:150], v[149:150], -0.5, v[155:156]
	v_add_f64_e64 v[155:156], v[10:11], -v[28:29]
	v_add_f64_e32 v[66:67], v[66:67], v[68:69]
	v_add_f64_e64 v[68:69], v[40:41], -v[48:49]
	v_add_f64_e32 v[88:89], v[88:89], v[90:91]
	;; [unrolled: 2-line block ×6, first 2 shown]
	v_add_f64_e64 v[219:220], v[28:29], -v[22:23]
	v_add_f64_e64 v[10:11], v[10:11], -v[24:25]
	;; [unrolled: 1-line block ×4, first 2 shown]
	v_fma_f64 v[183:184], v[183:184], -0.5, v[82:83]
	v_fma_f64 v[82:83], v[211:212], -0.5, v[82:83]
	v_fma_f64 v[211:212], v[221:222], -0.5, v[2:3]
	v_fma_f64 v[221:222], v[235:236], -0.5, v[134:135]
	v_fma_f64 v[134:135], v[241:242], -0.5, v[134:135]
	v_fma_f64 v[46:47], v[46:47], -0.5, v[80:81]
	v_fma_f64 v[151:152], v[151:152], -0.5, v[0:1]
	v_add_f64_e64 v[181:182], v[30:31], -v[36:37]
	v_fma_f64 v[72:73], v[72:73], -0.5, v[157:158]
	v_fma_f64 v[84:85], v[84:85], -0.5, v[157:158]
	v_add_f64_e32 v[76:77], v[76:77], v[78:79]
	v_add_f64_e64 v[78:79], v[50:51], -v[64:65]
	v_add_f64_e32 v[100:101], v[100:101], v[104:105]
	v_add_f64_e64 v[104:105], v[64:65], -v[50:51]
	;; [unrolled: 2-line block ×5, first 2 shown]
	v_fma_f64 v[141:142], v[141:142], -0.5, v[80:81]
	v_fma_f64 v[0:1], v[145:146], -0.5, v[0:1]
	v_add_f64_e64 v[237:238], v[58:59], -v[42:43]
	v_add_f64_e64 v[239:240], v[62:63], -v[60:61]
	v_add_f64_e64 v[58:59], v[58:59], -v[62:63]
	v_fma_f64 v[80:81], v[249:250], -0.5, v[132:133]
	v_fma_f64 v[132:133], v[163:164], -0.5, v[132:133]
	v_add_f64_e32 v[223:224], v[223:224], v[225:226]
	v_add_f64_e64 v[225:226], v[42:43], -v[60:61]
	v_add_f64_e64 v[54:55], v[54:55], -v[159:160]
	v_fma_f64 v[2:3], v[229:230], -0.5, v[2:3]
	v_add_f64_e64 v[118:119], v[118:119], -v[110:111]
	v_add_f64_e64 v[247:248], v[22:23], -v[24:25]
	;; [unrolled: 1-line block ×3, first 2 shown]
	v_add_f64_e32 v[213:214], v[52:53], v[213:214]
	v_add_f64_e64 v[52:53], v[52:53], -v[147:148]
	v_add_f64_e32 v[28:29], v[28:29], v[169:170]
	v_add_f64_e32 v[40:41], v[40:41], v[112:113]
	;; [unrolled: 1-line block ×6, first 2 shown]
	v_fma_f64 v[34:35], v[219:220], s[6:7], v[221:222]
	v_fma_f64 v[38:39], v[219:220], s[12:13], v[221:222]
	;; [unrolled: 1-line block ×7, first 2 shown]
	v_add_f64_e32 v[68:69], v[68:69], v[78:79]
	v_fma_f64 v[84:85], v[74:75], s[6:7], v[84:85]
	v_add_f64_e32 v[78:79], v[90:91], v[104:105]
	v_fma_f64 v[104:105], v[70:71], s[6:7], v[72:73]
	;; [unrolled: 2-line block ×4, first 2 shown]
	v_fma_f64 v[151:152], v[48:49], s[6:7], v[151:152]
	v_fma_f64 v[175:176], v[32:33], s[6:7], v[141:142]
	;; [unrolled: 1-line block ×5, first 2 shown]
	v_add_f64_e32 v[229:230], v[237:238], v[239:240]
	v_fma_f64 v[134:135], v[10:11], s[6:7], v[134:135]
	v_fma_f64 v[237:238], v[58:59], s[12:13], v[132:133]
	;; [unrolled: 1-line block ×7, first 2 shown]
	v_add_f64_e32 v[235:236], v[245:246], v[247:248]
	v_add_f64_e32 v[145:146], v[155:156], v[157:158]
	v_fma_f64 v[96:97], v[98:99], s[6:7], v[96:97]
	v_add_f64_e32 v[157:158], v[16:17], v[12:13]
	v_fma_f64 v[12:13], v[116:117], s[6:7], v[120:121]
	v_fma_f64 v[16:17], v[116:117], s[12:13], v[120:121]
	;; [unrolled: 1-line block ×4, first 2 shown]
	v_add_f64_e32 v[114:115], v[114:115], v[139:140]
	v_fma_f64 v[139:140], v[165:166], s[12:13], v[106:107]
	v_fma_f64 v[106:107], v[165:166], s[6:7], v[106:107]
	v_fma_f64 v[161:162], v[118:119], s[6:7], v[4:5]
	v_fma_f64 v[4:5], v[118:119], s[12:13], v[4:5]
	v_fma_f64 v[245:246], v[181:182], s[6:7], v[183:184]
	v_fma_f64 v[183:184], v[181:182], s[12:13], v[183:184]
	v_add_f64_e32 v[147:148], v[147:148], v[213:214]
	v_fma_f64 v[213:214], v[52:53], s[12:13], v[211:212]
	v_fma_f64 v[211:212], v[52:53], s[6:7], v[211:212]
	;; [unrolled: 1-line block ×6, first 2 shown]
	v_add_f64_e32 v[22:23], v[28:29], v[22:23]
	v_add_f64_e32 v[28:29], v[50:51], v[40:41]
	v_add_f64_e32 v[18:19], v[18:19], v[20:21]
	v_add_f64_e32 v[30:31], v[30:31], v[36:37]
	v_add_f64_e32 v[36:37], v[60:61], v[42:43]
	v_fma_f64 v[20:21], v[10:11], s[2:3], v[34:35]
	s_wait_alu 0xfffe
	v_fma_f64 v[34:35], v[10:11], s[4:5], v[38:39]
	v_fma_f64 v[38:39], v[219:220], s[2:3], v[169:170]
	;; [unrolled: 1-line block ×30, first 2 shown]
	v_add_f64_e32 v[2:3], v[159:160], v[147:148]
	v_fma_f64 v[159:160], v[54:55], s[2:3], v[211:212]
	v_fma_f64 v[161:162], v[185:186], s[2:3], v[245:246]
	;; [unrolled: 1-line block ×7, first 2 shown]
	v_add_f64_e32 v[10:11], v[64:65], v[28:29]
	v_add_f64_e32 v[8:9], v[18:19], v[14:15]
	;; [unrolled: 1-line block ×4, first 2 shown]
	v_fma_f64 v[22:23], v[229:230], s[0:1], v[38:39]
	v_fma_f64 v[38:39], v[78:79], s[0:1], v[32:33]
	;; [unrolled: 1-line block ×3, first 2 shown]
	v_add_f64_e32 v[0:1], v[30:31], v[26:27]
	v_fma_f64 v[18:19], v[231:232], s[0:1], v[34:35]
	v_fma_f64 v[34:35], v[78:79], s[0:1], v[50:51]
	;; [unrolled: 1-line block ×17, first 2 shown]
	v_add_f64_e32 v[48:49], v[157:158], v[56:57]
	v_fma_f64 v[58:59], v[66:67], s[0:1], v[60:61]
	v_fma_f64 v[56:57], v[88:89], s[0:1], v[84:85]
	;; [unrolled: 1-line block ×4, first 2 shown]
	v_add_f64_e32 v[50:51], v[94:95], v[86:87]
	v_fma_f64 v[88:89], v[215:216], s[0:1], v[159:160]
	v_fma_f64 v[86:87], v[177:178], s[0:1], v[161:162]
	;; [unrolled: 1-line block ×7, first 2 shown]
	v_add_co_u32 v126, vcc_lo, v136, v126
	s_wait_alu 0xfffd
	v_add_co_ci_u32_e32 v127, vcc_lo, v137, v127, vcc_lo
	s_clause 0xb
	global_store_b128 v[171:172], v[8:11], off
	global_store_b128 v[173:174], v[36:39], off
	global_store_b128 v[187:188], v[28:31], off
	global_store_b128 v[189:190], v[24:27], off
	global_store_b128 v[191:192], v[32:35], off
	global_store_b128 v[193:194], v[4:7], off
	global_store_b128 v[195:196], v[40:43], off
	global_store_b128 v[198:199], v[16:19], off
	global_store_b128 v[200:201], v[12:15], off
	global_store_b128 v[202:203], v[20:23], off
	global_store_b128 v[143:144], v[0:3], off
	global_store_b128 v[126:127], v[44:47], off
	v_add_nc_u32_e32 v11, 0x1c2, v138
	v_lshlrev_b64_e32 v[2:3], 4, v[208:209]
	v_mov_b32_e32 v211, v228
	v_add_co_u32 v0, vcc_lo, v136, v130
	v_mad_co_u64_u32 v[122:123], null, s8, v138, 0
	v_mad_co_u64_u32 v[5:6], null, s8, v11, 0
	s_wait_alu 0xfffd
	v_add_co_ci_u32_e32 v1, vcc_lo, v137, v131, vcc_lo
	v_add_co_u32 v2, vcc_lo, v136, v2
	v_lshlrev_b64_e32 v[7:8], 4, v[210:211]
	s_wait_alu 0xfffd
	v_add_co_ci_u32_e32 v3, vcc_lo, v137, v3, vcc_lo
	v_add_f64_e32 v[54:55], v[110:111], v[114:115]
	v_add_f64_e32 v[52:53], v[163:164], v[217:218]
	v_fma_f64 v[94:95], v[128:129], s[0:1], v[116:117]
	v_fma_f64 v[92:93], v[167:168], s[0:1], v[149:150]
	v_mov_b32_e32 v4, v123
	s_clause 0x1
	global_store_b128 v[0:1], v[88:91], off
	global_store_b128 v[2:3], v[84:87], off
	v_mov_b32_e32 v0, v6
	v_add_co_u32 v1, vcc_lo, v136, v7
	v_mad_co_u64_u32 v[9:10], null, s9, v138, v[4:5]
	s_wait_alu 0xfffd
	v_add_co_ci_u32_e32 v2, vcc_lo, v137, v8, vcc_lo
	s_delay_alu instid0(VALU_DEP_3) | instskip(SKIP_1) | instid1(VALU_DEP_4)
	v_mad_co_u64_u32 v[3:4], null, s9, v11, v[0:1]
	v_add_nc_u32_e32 v11, 0x384, v138
	v_dual_mov_b32 v123, v9 :: v_dual_add_nc_u32 v12, 0x546, v138
	v_fma_f64 v[62:63], v[66:67], s[0:1], v[72:73]
	v_fma_f64 v[66:67], v[76:77], s[0:1], v[74:75]
	s_delay_alu instid0(VALU_DEP_4)
	v_mad_co_u64_u32 v[7:8], null, s8, v11, 0
	v_mov_b32_e32 v6, v3
	v_mad_co_u64_u32 v[9:10], null, s8, v12, 0
	v_fma_f64 v[70:71], v[76:77], s[0:1], v[70:71]
	v_fma_f64 v[78:79], v[108:109], s[0:1], v[124:125]
	v_fma_f64 v[76:77], v[153:154], s[0:1], v[106:107]
	v_lshlrev_b64_e32 v[3:4], 4, v[5:6]
	global_store_b128 v[1:2], v[96:99], off
	v_mov_b32_e32 v2, v8
	v_lshlrev_b64_e32 v[0:1], 4, v[122:123]
	v_fma_f64 v[74:75], v[108:109], s[0:1], v[155:156]
	v_fma_f64 v[72:73], v[153:154], s[0:1], v[139:140]
	v_mov_b32_e32 v5, v10
	v_mad_co_u64_u32 v[10:11], null, s9, v11, v[2:3]
	v_add_nc_u32_e32 v13, 0x708, v138
	v_add_co_u32 v0, vcc_lo, v136, v0
	s_wait_alu 0xfffd
	v_add_co_ci_u32_e32 v1, vcc_lo, v137, v1, vcc_lo
	v_mad_co_u64_u32 v[5:6], null, s9, v12, v[5:6]
	v_mad_co_u64_u32 v[11:12], null, s8, v13, 0
	v_add_co_u32 v2, vcc_lo, v136, v3
	s_wait_alu 0xfffd
	v_add_co_ci_u32_e32 v3, vcc_lo, v137, v4, vcc_lo
	v_mov_b32_e32 v8, v10
	global_store_b128 v[0:1], v[52:55], off
	v_mul_hi_u32 v14, 0x91a2b3c5, v251
	global_store_b128 v[2:3], v[92:95], off
	v_mov_b32_e32 v0, v12
	v_lshlrev_b64_e32 v[1:2], 4, v[7:8]
	v_fma_f64 v[82:83], v[128:129], s[0:1], v[120:121]
	v_fma_f64 v[80:81], v[167:168], s[0:1], v[118:119]
	v_mov_b32_e32 v10, v5
	s_delay_alu instid0(VALU_DEP_4) | instskip(SKIP_1) | instid1(VALU_DEP_3)
	v_mad_co_u64_u32 v[5:6], null, s9, v13, v[0:1]
	v_lshrrev_b32_e32 v6, 8, v14
	v_lshlrev_b64_e32 v[3:4], 4, v[9:10]
	v_add_co_u32 v0, vcc_lo, v136, v1
	s_wait_alu 0xfffd
	v_add_co_ci_u32_e32 v1, vcc_lo, v137, v2, vcc_lo
	v_mad_u32_u24 v13, 0x708, v6, v251
	v_mov_b32_e32 v12, v5
	v_add_co_u32 v2, vcc_lo, v136, v3
	global_store_b128 v[0:1], v[76:79], off
	s_wait_alu 0xfffd
	v_add_co_ci_u32_e32 v3, vcc_lo, v137, v4, vcc_lo
	v_lshlrev_b64_e32 v[0:1], 4, v[11:12]
	v_add_nc_u32_e32 v12, 0x384, v13
	v_add_nc_u32_e32 v10, 0x1c2, v13
	v_mad_co_u64_u32 v[4:5], null, s8, v13, 0
	global_store_b128 v[2:3], v[72:75], off
	v_mad_co_u64_u32 v[6:7], null, s8, v12, 0
	v_mad_co_u64_u32 v[2:3], null, s8, v10, 0
	v_add_nc_u32_e32 v15, 0x546, v13
	v_add_co_u32 v0, vcc_lo, v136, v0
	v_add_nc_u32_e32 v16, 0x708, v13
	v_mad_co_u64_u32 v[8:9], null, s9, v13, v[5:6]
	v_mad_co_u64_u32 v[9:10], null, s9, v10, v[3:4]
	v_mov_b32_e32 v3, v7
	v_mad_co_u64_u32 v[10:11], null, s8, v15, 0
	s_wait_alu 0xfffd
	v_add_co_ci_u32_e32 v1, vcc_lo, v137, v1, vcc_lo
	s_delay_alu instid0(VALU_DEP_3)
	v_mad_co_u64_u32 v[12:13], null, s9, v12, v[3:4]
	v_mad_co_u64_u32 v[13:14], null, s8, v16, 0
	global_store_b128 v[0:1], v[80:83], off
	v_dual_mov_b32 v0, v11 :: v_dual_mov_b32 v3, v9
	v_mov_b32_e32 v5, v8
	v_mov_b32_e32 v7, v12
	s_delay_alu instid0(VALU_DEP_3) | instskip(NEXT) | instid1(VALU_DEP_4)
	v_mad_co_u64_u32 v[0:1], null, s9, v15, v[0:1]
	v_lshlrev_b64_e32 v[2:3], 4, v[2:3]
	v_mov_b32_e32 v1, v14
	v_lshlrev_b64_e32 v[4:5], 4, v[4:5]
	v_lshlrev_b64_e32 v[6:7], 4, v[6:7]
	s_delay_alu instid0(VALU_DEP_3) | instskip(NEXT) | instid1(VALU_DEP_3)
	v_mad_co_u64_u32 v[8:9], null, s9, v16, v[1:2]
	v_add_co_u32 v4, vcc_lo, v136, v4
	v_mov_b32_e32 v11, v0
	s_wait_alu 0xfffd
	v_add_co_ci_u32_e32 v5, vcc_lo, v137, v5, vcc_lo
	v_add_co_u32 v0, vcc_lo, v136, v2
	v_mov_b32_e32 v14, v8
	s_wait_alu 0xfffd
	v_add_co_ci_u32_e32 v1, vcc_lo, v137, v3, vcc_lo
	v_lshlrev_b64_e32 v[2:3], 4, v[10:11]
	v_add_co_u32 v6, vcc_lo, v136, v6
	v_lshlrev_b64_e32 v[8:9], 4, v[13:14]
	s_wait_alu 0xfffd
	v_add_co_ci_u32_e32 v7, vcc_lo, v137, v7, vcc_lo
	s_delay_alu instid0(VALU_DEP_4)
	v_add_co_u32 v2, vcc_lo, v136, v2
	s_wait_alu 0xfffd
	v_add_co_ci_u32_e32 v3, vcc_lo, v137, v3, vcc_lo
	v_add_co_u32 v8, vcc_lo, v136, v8
	s_wait_alu 0xfffd
	v_add_co_ci_u32_e32 v9, vcc_lo, v137, v9, vcc_lo
	s_clause 0x4
	global_store_b128 v[4:5], v[48:51], off
	global_store_b128 v[0:1], v[68:71], off
	;; [unrolled: 1-line block ×5, first 2 shown]
.LBB0_37:
	s_nop 0
	s_sendmsg sendmsg(MSG_DEALLOC_VGPRS)
	s_endpgm
	.section	.rodata,"a",@progbits
	.p2align	6, 0x0
	.amdhsa_kernel fft_rtc_back_len2250_factors_10_3_5_3_5_wgs_90_tpt_90_halfLds_dp_ip_CI_sbrr_dirReg
		.amdhsa_group_segment_fixed_size 0
		.amdhsa_private_segment_fixed_size 36
		.amdhsa_kernarg_size 88
		.amdhsa_user_sgpr_count 2
		.amdhsa_user_sgpr_dispatch_ptr 0
		.amdhsa_user_sgpr_queue_ptr 0
		.amdhsa_user_sgpr_kernarg_segment_ptr 1
		.amdhsa_user_sgpr_dispatch_id 0
		.amdhsa_user_sgpr_private_segment_size 0
		.amdhsa_wavefront_size32 1
		.amdhsa_uses_dynamic_stack 0
		.amdhsa_enable_private_segment 1
		.amdhsa_system_sgpr_workgroup_id_x 1
		.amdhsa_system_sgpr_workgroup_id_y 0
		.amdhsa_system_sgpr_workgroup_id_z 0
		.amdhsa_system_sgpr_workgroup_info 0
		.amdhsa_system_vgpr_workitem_id 0
		.amdhsa_next_free_vgpr 256
		.amdhsa_next_free_sgpr 35
		.amdhsa_reserve_vcc 1
		.amdhsa_float_round_mode_32 0
		.amdhsa_float_round_mode_16_64 0
		.amdhsa_float_denorm_mode_32 3
		.amdhsa_float_denorm_mode_16_64 3
		.amdhsa_fp16_overflow 0
		.amdhsa_workgroup_processor_mode 1
		.amdhsa_memory_ordered 1
		.amdhsa_forward_progress 0
		.amdhsa_round_robin_scheduling 0
		.amdhsa_exception_fp_ieee_invalid_op 0
		.amdhsa_exception_fp_denorm_src 0
		.amdhsa_exception_fp_ieee_div_zero 0
		.amdhsa_exception_fp_ieee_overflow 0
		.amdhsa_exception_fp_ieee_underflow 0
		.amdhsa_exception_fp_ieee_inexact 0
		.amdhsa_exception_int_div_zero 0
	.end_amdhsa_kernel
	.text
.Lfunc_end0:
	.size	fft_rtc_back_len2250_factors_10_3_5_3_5_wgs_90_tpt_90_halfLds_dp_ip_CI_sbrr_dirReg, .Lfunc_end0-fft_rtc_back_len2250_factors_10_3_5_3_5_wgs_90_tpt_90_halfLds_dp_ip_CI_sbrr_dirReg
                                        ; -- End function
	.section	.AMDGPU.csdata,"",@progbits
; Kernel info:
; codeLenInByte = 22684
; NumSgprs: 37
; NumVgprs: 256
; ScratchSize: 36
; MemoryBound: 1
; FloatMode: 240
; IeeeMode: 1
; LDSByteSize: 0 bytes/workgroup (compile time only)
; SGPRBlocks: 4
; VGPRBlocks: 31
; NumSGPRsForWavesPerEU: 37
; NumVGPRsForWavesPerEU: 256
; Occupancy: 5
; WaveLimiterHint : 1
; COMPUTE_PGM_RSRC2:SCRATCH_EN: 1
; COMPUTE_PGM_RSRC2:USER_SGPR: 2
; COMPUTE_PGM_RSRC2:TRAP_HANDLER: 0
; COMPUTE_PGM_RSRC2:TGID_X_EN: 1
; COMPUTE_PGM_RSRC2:TGID_Y_EN: 0
; COMPUTE_PGM_RSRC2:TGID_Z_EN: 0
; COMPUTE_PGM_RSRC2:TIDIG_COMP_CNT: 0
	.text
	.p2alignl 7, 3214868480
	.fill 96, 4, 3214868480
	.type	__hip_cuid_bbe61a07ee7706f9,@object ; @__hip_cuid_bbe61a07ee7706f9
	.section	.bss,"aw",@nobits
	.globl	__hip_cuid_bbe61a07ee7706f9
__hip_cuid_bbe61a07ee7706f9:
	.byte	0                               ; 0x0
	.size	__hip_cuid_bbe61a07ee7706f9, 1

	.ident	"AMD clang version 19.0.0git (https://github.com/RadeonOpenCompute/llvm-project roc-6.4.0 25133 c7fe45cf4b819c5991fe208aaa96edf142730f1d)"
	.section	".note.GNU-stack","",@progbits
	.addrsig
	.addrsig_sym __hip_cuid_bbe61a07ee7706f9
	.amdgpu_metadata
---
amdhsa.kernels:
  - .args:
      - .actual_access:  read_only
        .address_space:  global
        .offset:         0
        .size:           8
        .value_kind:     global_buffer
      - .offset:         8
        .size:           8
        .value_kind:     by_value
      - .actual_access:  read_only
        .address_space:  global
        .offset:         16
        .size:           8
        .value_kind:     global_buffer
      - .actual_access:  read_only
        .address_space:  global
        .offset:         24
        .size:           8
        .value_kind:     global_buffer
      - .offset:         32
        .size:           8
        .value_kind:     by_value
      - .actual_access:  read_only
        .address_space:  global
        .offset:         40
        .size:           8
        .value_kind:     global_buffer
      - .actual_access:  read_only
        .address_space:  global
        .offset:         48
        .size:           8
        .value_kind:     global_buffer
      - .offset:         56
        .size:           4
        .value_kind:     by_value
      - .actual_access:  read_only
        .address_space:  global
        .offset:         64
        .size:           8
        .value_kind:     global_buffer
      - .actual_access:  read_only
        .address_space:  global
        .offset:         72
        .size:           8
        .value_kind:     global_buffer
      - .address_space:  global
        .offset:         80
        .size:           8
        .value_kind:     global_buffer
    .group_segment_fixed_size: 0
    .kernarg_segment_align: 8
    .kernarg_segment_size: 88
    .language:       OpenCL C
    .language_version:
      - 2
      - 0
    .max_flat_workgroup_size: 90
    .name:           fft_rtc_back_len2250_factors_10_3_5_3_5_wgs_90_tpt_90_halfLds_dp_ip_CI_sbrr_dirReg
    .private_segment_fixed_size: 36
    .sgpr_count:     37
    .sgpr_spill_count: 0
    .symbol:         fft_rtc_back_len2250_factors_10_3_5_3_5_wgs_90_tpt_90_halfLds_dp_ip_CI_sbrr_dirReg.kd
    .uniform_work_group_size: 1
    .uses_dynamic_stack: false
    .vgpr_count:     256
    .vgpr_spill_count: 10
    .wavefront_size: 32
    .workgroup_processor_mode: 1
amdhsa.target:   amdgcn-amd-amdhsa--gfx1201
amdhsa.version:
  - 1
  - 2
...

	.end_amdgpu_metadata
